;; amdgpu-corpus repo=ROCm/rocFFT kind=compiled arch=gfx1201 opt=O3
	.text
	.amdgcn_target "amdgcn-amd-amdhsa--gfx1201"
	.amdhsa_code_object_version 6
	.protected	bluestein_single_fwd_len1470_dim1_sp_op_CI_CI ; -- Begin function bluestein_single_fwd_len1470_dim1_sp_op_CI_CI
	.globl	bluestein_single_fwd_len1470_dim1_sp_op_CI_CI
	.p2align	8
	.type	bluestein_single_fwd_len1470_dim1_sp_op_CI_CI,@function
bluestein_single_fwd_len1470_dim1_sp_op_CI_CI: ; @bluestein_single_fwd_len1470_dim1_sp_op_CI_CI
; %bb.0:
	s_load_b128 s[8:11], s[0:1], 0x28
	v_mul_u32_u24_e32 v1, 0x139, v0
	s_mov_b32 s2, exec_lo
	v_mov_b32_e32 v61, 0
	s_delay_alu instid0(VALU_DEP_2) | instskip(NEXT) | instid1(VALU_DEP_1)
	v_lshrrev_b32_e32 v1, 16, v1
	v_add_nc_u32_e32 v60, ttmp9, v1
	s_wait_kmcnt 0x0
	s_delay_alu instid0(VALU_DEP_1)
	v_cmpx_gt_u64_e64 s[8:9], v[60:61]
	s_cbranch_execz .LBB0_31
; %bb.1:
	s_clause 0x1
	s_load_b128 s[4:7], s[0:1], 0x18
	s_load_b64 s[16:17], s[0:1], 0x0
	v_mul_lo_u16 v1, 0xd2, v1
	s_movk_i32 s2, 0xfdf3
	s_mov_b32 s3, -1
	s_delay_alu instid0(VALU_DEP_1) | instskip(NEXT) | instid1(VALU_DEP_1)
	v_sub_nc_u16 v18, v0, v1
	v_and_b32_e32 v80, 0xffff, v18
	s_wait_kmcnt 0x0
	s_load_b128 s[12:15], s[4:5], 0x0
	s_wait_kmcnt 0x0
	v_mad_co_u64_u32 v[0:1], null, s14, v60, 0
	v_mad_co_u64_u32 v[2:3], null, s12, v80, 0
	s_mul_u64 s[4:5], s[12:13], 0x2df
	s_mul_u64 s[2:3], s[12:13], s[2:3]
	s_delay_alu instid0(SALU_CYCLE_1) | instskip(NEXT) | instid1(VALU_DEP_1)
	s_lshl_b64 s[2:3], s[2:3], 3
	v_mad_co_u64_u32 v[4:5], null, s15, v60, v[1:2]
	s_delay_alu instid0(VALU_DEP_1) | instskip(NEXT) | instid1(VALU_DEP_3)
	v_mov_b32_e32 v1, v4
	v_mad_co_u64_u32 v[5:6], null, s13, v80, v[3:4]
	v_lshlrev_b32_e32 v79, 3, v80
	s_delay_alu instid0(VALU_DEP_3)
	v_lshlrev_b64_e32 v[0:1], 3, v[0:1]
	s_clause 0x2
	global_load_b64 v[63:64], v79, s[16:17] offset:5880
	global_load_b64 v[73:74], v79, s[16:17]
	global_load_b64 v[65:66], v79, s[16:17] offset:1680
	v_mov_b32_e32 v3, v5
	v_add_co_u32 v0, vcc_lo, s10, v0
	v_add_co_ci_u32_e32 v1, vcc_lo, s11, v1, vcc_lo
	s_delay_alu instid0(VALU_DEP_3) | instskip(SKIP_1) | instid1(VALU_DEP_1)
	v_lshlrev_b64_e32 v[2:3], 3, v[2:3]
	s_lshl_b64 s[10:11], s[4:5], 3
	v_add_co_u32 v0, vcc_lo, v0, v2
	s_wait_alu 0xfffd
	s_delay_alu instid0(VALU_DEP_2) | instskip(SKIP_1) | instid1(VALU_DEP_2)
	v_add_co_ci_u32_e32 v1, vcc_lo, v1, v3, vcc_lo
	s_wait_alu 0xfffe
	v_add_co_u32 v2, vcc_lo, v0, s10
	global_load_b64 v[4:5], v[0:1], off
	s_wait_alu 0xfffd
	v_add_co_ci_u32_e32 v3, vcc_lo, s11, v1, vcc_lo
	v_add_co_u32 v0, vcc_lo, v2, s2
	s_wait_alu 0xfffd
	s_delay_alu instid0(VALU_DEP_2) | instskip(NEXT) | instid1(VALU_DEP_2)
	v_add_co_ci_u32_e32 v1, vcc_lo, s3, v3, vcc_lo
	v_add_co_u32 v6, vcc_lo, v0, s10
	s_wait_alu 0xfffd
	s_delay_alu instid0(VALU_DEP_2) | instskip(NEXT) | instid1(VALU_DEP_2)
	v_add_co_ci_u32_e32 v7, vcc_lo, s11, v1, vcc_lo
	v_add_co_u32 v10, vcc_lo, v6, s2
	s_wait_alu 0xfffd
	s_delay_alu instid0(VALU_DEP_2)
	v_add_co_ci_u32_e32 v11, vcc_lo, s3, v7, vcc_lo
	s_wait_loadcnt 0x0
	v_mul_f32_e32 v14, v5, v74
	global_load_b64 v[67:68], v79, s[16:17] offset:7560
	s_clause 0x2
	global_load_b64 v[2:3], v[2:3], off
	global_load_b64 v[8:9], v[0:1], off
	;; [unrolled: 1-line block ×3, first 2 shown]
	v_add_co_u32 v0, vcc_lo, v10, s10
	v_fmac_f32_e32 v14, v4, v73
	s_wait_alu 0xfffd
	v_add_co_ci_u32_e32 v1, vcc_lo, s11, v11, vcc_lo
	global_load_b64 v[69:70], v79, s[16:17] offset:3360
	global_load_b64 v[10:11], v[10:11], off
	global_load_b64 v[71:72], v79, s[16:17] offset:9240
	global_load_b64 v[12:13], v[0:1], off
	s_load_b64 s[8:9], s[0:1], 0x38
	s_load_b128 s[4:7], s[6:7], 0x0
	v_mul_f32_e32 v15, v4, v74
	v_add_co_u32 v61, s12, s16, v79
	s_wait_alu 0xf1ff
	v_add_co_ci_u32_e64 v62, null, s17, 0, s12
	v_cmp_gt_u16_e32 vcc_lo, 0x69, v18
	s_wait_loadcnt 0x6
	v_mul_f32_e32 v4, v3, v64
	v_fma_f32 v15, v5, v73, -v15
	s_wait_loadcnt 0x5
	v_dual_mul_f32 v5, v2, v64 :: v_dual_mul_f32 v16, v9, v66
	s_delay_alu instid0(VALU_DEP_3) | instskip(SKIP_2) | instid1(VALU_DEP_3)
	v_dual_mul_f32 v17, v8, v66 :: v_dual_fmac_f32 v4, v2, v63
	s_wait_loadcnt 0x4
	v_mul_f32_e32 v2, v7, v68
	v_fma_f32 v5, v3, v63, -v5
	v_dual_fmac_f32 v16, v8, v65 :: v_dual_mul_f32 v3, v6, v68
	v_fma_f32 v17, v9, v65, -v17
	s_wait_loadcnt 0x2
	v_mul_f32_e32 v9, v10, v70
	s_wait_loadcnt 0x0
	v_dual_fmac_f32 v2, v6, v67 :: v_dual_mul_f32 v19, v12, v72
	v_mul_f32_e32 v6, v11, v70
	v_mul_f32_e32 v8, v13, v72
	v_fma_f32 v3, v7, v67, -v3
	v_fma_f32 v7, v11, v69, -v9
	;; [unrolled: 1-line block ×3, first 2 shown]
	v_fmac_f32_e32 v6, v10, v69
	v_fmac_f32_e32 v8, v12, v71
	v_add_nc_u32_e32 v10, 0x1d00, v79
	ds_store_b64 v79, v[4:5] offset:5880
	ds_store_2addr_b64 v79, v[14:15], v[16:17] offset1:210
	ds_store_b64 v79, v[6:7] offset:3360
	ds_store_2addr_b64 v10, v[2:3], v[8:9] offset0:17 offset1:227
	s_and_saveexec_b32 s12, vcc_lo
	s_cbranch_execz .LBB0_3
; %bb.2:
	v_add_co_u32 v0, s2, v0, s2
	s_wait_alu 0xf1ff
	v_add_co_ci_u32_e64 v1, s2, s3, v1, s2
	s_delay_alu instid0(VALU_DEP_2) | instskip(SKIP_1) | instid1(VALU_DEP_2)
	v_add_co_u32 v2, s2, v0, s10
	s_wait_alu 0xf1ff
	v_add_co_ci_u32_e64 v3, s2, s11, v1, s2
	global_load_b64 v[0:1], v[0:1], off
	s_clause 0x1
	global_load_b64 v[4:5], v[61:62], off offset:5040
	global_load_b64 v[6:7], v[61:62], off offset:10920
	global_load_b64 v[2:3], v[2:3], off
	s_wait_loadcnt 0x2
	v_mul_f32_e32 v8, v1, v5
	v_mul_f32_e32 v9, v0, v5
	s_wait_loadcnt 0x0
	v_mul_f32_e32 v5, v3, v7
	s_delay_alu instid0(VALU_DEP_3) | instskip(NEXT) | instid1(VALU_DEP_3)
	v_dual_mul_f32 v7, v2, v7 :: v_dual_fmac_f32 v8, v0, v4
	v_fma_f32 v9, v1, v4, -v9
	s_delay_alu instid0(VALU_DEP_3) | instskip(NEXT) | instid1(VALU_DEP_3)
	v_fmac_f32_e32 v5, v2, v6
	v_fma_f32 v6, v3, v6, -v7
	ds_store_b64 v79, v[8:9] offset:5040
	ds_store_b64 v79, v[5:6] offset:10920
.LBB0_3:
	s_wait_alu 0xfffe
	s_or_b32 exec_lo, exec_lo, s12
	v_add_nc_u32_e32 v4, 0x1600, v79
	global_wb scope:SCOPE_SE
	s_wait_dscnt 0x0
	s_wait_kmcnt 0x0
	s_barrier_signal -1
	s_barrier_wait -1
	global_inv scope:SCOPE_SE
	ds_load_2addr_b64 v[0:3], v79 offset1:210
	ds_load_2addr_b64 v[4:7], v4 offset0:31 offset1:241
	ds_load_b64 v[8:9], v79 offset:3360
	ds_load_b64 v[14:15], v79 offset:9240
                                        ; implicit-def: $vgpr12
                                        ; implicit-def: $vgpr10
	s_and_saveexec_b32 s2, vcc_lo
	s_cbranch_execz .LBB0_5
; %bb.4:
	ds_load_b64 v[10:11], v79 offset:5040
	ds_load_b64 v[12:13], v79 offset:10920
.LBB0_5:
	s_wait_alu 0xfffe
	s_or_b32 exec_lo, exec_lo, s2
	s_load_b64 s[2:3], s[0:1], 0x8
	s_wait_dscnt 0x2
	v_dual_sub_f32 v20, v0, v4 :: v_dual_sub_f32 v21, v1, v5
	v_add_co_u32 v16, null, 0xd2, v80
	v_add_co_u32 v17, null, 0x1a4, v80
	s_delay_alu instid0(VALU_DEP_3)
	v_fma_f32 v18, v0, 2.0, -v20
	v_lshlrev_b16 v0, 1, v80
	v_dual_sub_f32 v4, v2, v6 :: v_dual_sub_f32 v5, v3, v7
	v_add_co_u32 v6, null, 0x276, v80
	s_wait_dscnt 0x0
	v_dual_sub_f32 v24, v10, v12 :: v_dual_sub_f32 v25, v11, v13
	v_and_b32_e32 v0, 0xffff, v0
	v_dual_sub_f32 v14, v8, v14 :: v_dual_sub_f32 v15, v9, v15
	v_fma_f32 v19, v1, 2.0, -v21
	s_delay_alu instid0(VALU_DEP_4)
	v_fma_f32 v22, v10, 2.0, -v24
	v_fma_f32 v23, v11, 2.0, -v25
	v_lshlrev_b32_e32 v85, 3, v0
	v_lshlrev_b32_e32 v86, 4, v16
	;; [unrolled: 1-line block ×4, first 2 shown]
	v_fma_f32 v2, v2, 2.0, -v4
	v_fma_f32 v3, v3, 2.0, -v5
	;; [unrolled: 1-line block ×4, first 2 shown]
	global_wb scope:SCOPE_SE
	s_wait_kmcnt 0x0
	s_barrier_signal -1
	s_barrier_wait -1
	global_inv scope:SCOPE_SE
	ds_store_b128 v85, v[18:21]
	ds_store_b128 v86, v[2:5]
	;; [unrolled: 1-line block ×3, first 2 shown]
	s_and_saveexec_b32 s0, vcc_lo
	s_cbranch_execz .LBB0_7
; %bb.6:
	ds_store_b128 v84, v[22:25]
.LBB0_7:
	s_wait_alu 0xfffe
	s_or_b32 exec_lo, exec_lo, s0
	v_add_nc_u32_e32 v0, 0xe00, v79
	v_add_nc_u32_e32 v1, 0x1e00, v79
	global_wb scope:SCOPE_SE
	s_wait_dscnt 0x0
	s_barrier_signal -1
	s_barrier_wait -1
	global_inv scope:SCOPE_SE
	ds_load_2addr_b64 v[18:21], v79 offset1:210
	ds_load_2addr_b64 v[4:7], v0 offset0:42 offset1:252
	ds_load_2addr_b64 v[0:3], v1 offset0:20 offset1:230
	v_cmp_gt_u16_e64 s0, 0x46, v80
                                        ; implicit-def: $vgpr12
	s_delay_alu instid0(VALU_DEP_1)
	s_and_saveexec_b32 s1, s0
	s_cbranch_execz .LBB0_9
; %bb.8:
	ds_load_b64 v[22:23], v79 offset:3360
	ds_load_b64 v[24:25], v79 offset:7280
	ds_load_b64 v[12:13], v79 offset:11200
.LBB0_9:
	s_wait_alu 0xfffe
	s_or_b32 exec_lo, exec_lo, s1
	v_and_b32_e32 v81, 1, v80
	v_lshrrev_b32_e32 v14, 1, v80
	v_lshrrev_b32_e32 v15, 1, v16
	;; [unrolled: 1-line block ×3, first 2 shown]
	s_delay_alu instid0(VALU_DEP_4) | instskip(NEXT) | instid1(VALU_DEP_4)
	v_lshlrev_b32_e32 v8, 4, v81
	v_mul_u32_u24_e32 v14, 6, v14
	s_delay_alu instid0(VALU_DEP_4)
	v_mul_u32_u24_e32 v15, 6, v15
	global_load_b128 v[8:11], v8, s[2:3]
	v_or_b32_e32 v14, v14, v81
	global_wb scope:SCOPE_SE
	s_wait_loadcnt_dscnt 0x0
	s_barrier_signal -1
	s_barrier_wait -1
	global_inv scope:SCOPE_SE
	v_dual_mul_f32 v26, v0, v11 :: v_dual_lshlrev_b32 v87, 3, v14
	v_mul_f32_e32 v14, v5, v9
	v_or_b32_e32 v15, v15, v81
	v_mul_f32_e32 v17, v1, v11
	v_dual_mul_f32 v27, v7, v9 :: v_dual_mul_f32 v34, v12, v11
	s_delay_alu instid0(VALU_DEP_3) | instskip(SKIP_2) | instid1(VALU_DEP_3)
	v_dual_mul_f32 v28, v6, v9 :: v_dual_lshlrev_b32 v83, 3, v15
	v_dual_mul_f32 v15, v4, v9 :: v_dual_mul_f32 v30, v2, v11
	v_dual_mul_f32 v29, v3, v11 :: v_dual_mul_f32 v32, v24, v9
	v_dual_mul_f32 v31, v25, v9 :: v_dual_fmac_f32 v28, v7, v8
	s_delay_alu instid0(VALU_DEP_3)
	v_dual_mul_f32 v33, v13, v11 :: v_dual_fmac_f32 v30, v3, v10
	v_fma_f32 v4, v4, v8, -v14
	v_fma_f32 v0, v0, v10, -v17
	v_fmac_f32_e32 v26, v1, v10
	v_fma_f32 v1, v6, v8, -v27
	v_fmac_f32_e32 v15, v5, v8
	v_fma_f32 v5, v2, v10, -v29
	v_fma_f32 v2, v24, v8, -v31
	v_fmac_f32_e32 v32, v25, v8
	v_fma_f32 v6, v12, v10, -v33
	v_dual_fmac_f32 v34, v13, v10 :: v_dual_add_f32 v7, v4, v0
	v_dual_add_f32 v3, v18, v4 :: v_dual_sub_f32 v12, v15, v26
	v_add_f32_e32 v13, v19, v15
	v_dual_add_f32 v14, v15, v26 :: v_dual_add_f32 v17, v1, v5
	v_sub_f32_e32 v15, v4, v0
	v_add_f32_e32 v4, v20, v1
	v_add_f32_e32 v27, v28, v30
	v_dual_add_f32 v29, v22, v2 :: v_dual_add_f32 v0, v3, v0
	s_delay_alu instid0(VALU_DEP_3)
	v_dual_add_f32 v31, v2, v6 :: v_dual_add_f32 v4, v4, v5
	v_sub_f32_e32 v33, v32, v34
	v_dual_add_f32 v35, v23, v32 :: v_dual_add_f32 v32, v32, v34
	v_dual_sub_f32 v24, v28, v30 :: v_dual_add_f32 v25, v21, v28
	v_sub_f32_e32 v28, v1, v5
	v_dual_sub_f32 v36, v2, v6 :: v_dual_fmac_f32 v21, -0.5, v27
	v_fma_f32 v2, -0.5, v7, v18
	v_add_f32_e32 v1, v13, v26
	v_fma_f32 v3, -0.5, v14, v19
	v_fma_f32 v20, -0.5, v17, v20
	v_dual_add_f32 v26, v29, v6 :: v_dual_fmac_f32 v23, -0.5, v32
	v_dual_fmac_f32 v22, -0.5, v31 :: v_dual_add_f32 v5, v25, v30
	v_dual_add_f32 v27, v35, v34 :: v_dual_fmamk_f32 v6, v12, 0x3f5db3d7, v2
	v_fmac_f32_e32 v2, 0xbf5db3d7, v12
	v_fmamk_f32 v12, v24, 0x3f5db3d7, v20
	v_dual_fmamk_f32 v7, v15, 0xbf5db3d7, v3 :: v_dual_fmac_f32 v20, 0xbf5db3d7, v24
	v_fmac_f32_e32 v3, 0x3f5db3d7, v15
	v_fmamk_f32 v13, v28, 0xbf5db3d7, v21
	v_dual_fmac_f32 v21, 0x3f5db3d7, v28 :: v_dual_fmamk_f32 v28, v33, 0x3f5db3d7, v22
	v_dual_fmac_f32 v22, 0xbf5db3d7, v33 :: v_dual_fmamk_f32 v29, v36, 0xbf5db3d7, v23
	v_fmac_f32_e32 v23, 0x3f5db3d7, v36
	ds_store_2addr_b64 v87, v[0:1], v[6:7] offset1:2
	ds_store_b64 v87, v[2:3] offset:32
	ds_store_2addr_b64 v83, v[4:5], v[12:13] offset1:2
	ds_store_b64 v83, v[20:21] offset:32
	s_and_saveexec_b32 s1, s0
	s_cbranch_execz .LBB0_11
; %bb.10:
	v_mul_u32_u24_e32 v0, 6, v82
	s_delay_alu instid0(VALU_DEP_1) | instskip(NEXT) | instid1(VALU_DEP_1)
	v_or_b32_e32 v0, v0, v81
	v_lshlrev_b32_e32 v0, 3, v0
	ds_store_2addr_b64 v0, v[26:27], v[28:29] offset1:2
	ds_store_b64 v0, v[22:23] offset:32
.LBB0_11:
	s_wait_alu 0xfffe
	s_or_b32 exec_lo, exec_lo, s1
	global_wb scope:SCOPE_SE
	s_wait_dscnt 0x0
	s_barrier_signal -1
	s_barrier_wait -1
	global_inv scope:SCOPE_SE
	ds_load_b64 v[24:25], v79
	ds_load_b64 v[36:37], v79 offset:2352
	ds_load_b64 v[34:35], v79 offset:4704
	;; [unrolled: 1-line block ×4, first 2 shown]
	v_cmp_gt_u16_e64 s1, 0x54, v80
                                        ; implicit-def: $vgpr38
	s_delay_alu instid0(VALU_DEP_1)
	s_and_saveexec_b32 s10, s1
	s_cbranch_execz .LBB0_13
; %bb.12:
	ds_load_b64 v[20:21], v79 offset:1680
	ds_load_b64 v[26:27], v79 offset:4032
	;; [unrolled: 1-line block ×5, first 2 shown]
.LBB0_13:
	s_wait_alu 0xfffe
	s_or_b32 exec_lo, exec_lo, s10
	v_and_b32_e32 v40, 0xff, v80
	v_and_b32_e32 v1, 0xffff, v16
	s_delay_alu instid0(VALU_DEP_2) | instskip(NEXT) | instid1(VALU_DEP_1)
	v_mul_lo_u16 v0, 0xab, v40
	v_lshrrev_b16 v41, 10, v0
	s_delay_alu instid0(VALU_DEP_3) | instskip(NEXT) | instid1(VALU_DEP_2)
	v_mul_u32_u24_e32 v0, 0xaaab, v1
	v_mul_lo_u16 v1, v41, 6
	s_delay_alu instid0(VALU_DEP_2) | instskip(NEXT) | instid1(VALU_DEP_2)
	v_lshrrev_b32_e32 v49, 18, v0
	v_sub_nc_u16 v0, v80, v1
	s_delay_alu instid0(VALU_DEP_2) | instskip(NEXT) | instid1(VALU_DEP_2)
	v_mul_lo_u16 v1, v49, 6
	v_and_b32_e32 v42, 0xff, v0
	s_delay_alu instid0(VALU_DEP_2) | instskip(NEXT) | instid1(VALU_DEP_2)
	v_sub_nc_u16 v50, v16, v1
	v_lshlrev_b32_e32 v0, 5, v42
	s_delay_alu instid0(VALU_DEP_2)
	v_lshlrev_b16 v1, 5, v50
	s_clause 0x1
	global_load_b128 v[16:19], v0, s[2:3] offset:32
	global_load_b128 v[12:15], v0, s[2:3] offset:48
	v_and_b32_e32 v0, 0xffff, v1
	s_wait_loadcnt_dscnt 0x102
	v_dual_mul_f32 v44, v34, v19 :: v_dual_and_b32 v41, 0xffff, v41
	s_wait_loadcnt_dscnt 0x0
	v_mul_f32_e32 v47, v31, v15
	v_add_co_u32 v0, s10, s2, v0
	s_wait_alu 0xf1ff
	v_add_co_ci_u32_e64 v1, null, s3, 0, s10
	v_mul_u32_u24_e32 v41, 30, v41
	v_mul_f32_e32 v43, v35, v19
	s_clause 0x1
	global_load_b128 v[4:7], v[0:1], off offset:32
	global_load_b128 v[0:3], v[0:1], off offset:48
	v_mul_f32_e32 v48, v30, v15
	v_add_lshl_u32 v89, v41, v42, 3
	v_mul_f32_e32 v41, v37, v17
	v_mul_f32_e32 v42, v36, v17
	;; [unrolled: 1-line block ×4, first 2 shown]
	v_fmac_f32_e32 v44, v35, v18
	v_fma_f32 v36, v36, v16, -v41
	v_fmac_f32_e32 v42, v37, v16
	v_fma_f32 v37, v34, v18, -v43
	v_fma_f32 v35, v32, v12, -v45
	;; [unrolled: 1-line block ×3, first 2 shown]
	global_wb scope:SCOPE_SE
	s_wait_loadcnt 0x0
	s_barrier_signal -1
	s_barrier_wait -1
	global_inv scope:SCOPE_SE
	v_mul_f32_e32 v41, v29, v7
	v_mul_f32_e32 v43, v23, v1
	v_dual_fmac_f32 v48, v31, v14 :: v_dual_mul_f32 v31, v22, v1
	v_dual_fmac_f32 v46, v33, v12 :: v_dual_mul_f32 v45, v39, v3
	v_dual_mul_f32 v33, v26, v5 :: v_dual_mul_f32 v32, v28, v7
	s_delay_alu instid0(VALU_DEP_3) | instskip(SKIP_2) | instid1(VALU_DEP_4)
	v_dual_mul_f32 v30, v38, v3 :: v_dual_fmac_f32 v31, v23, v0
	v_dual_add_f32 v23, v24, v36 :: v_dual_mul_f32 v34, v27, v5
	v_sub_f32_e32 v51, v42, v48
	v_fmac_f32_e32 v33, v27, v4
	v_fma_f32 v27, v28, v6, -v41
	v_dual_fmac_f32 v32, v29, v6 :: v_dual_sub_f32 v29, v36, v37
	v_fma_f32 v34, v26, v4, -v34
	v_fma_f32 v26, v22, v0, -v43
	;; [unrolled: 1-line block ×3, first 2 shown]
	v_dual_fmac_f32 v30, v39, v2 :: v_dual_add_f32 v39, v36, v47
	v_dual_add_f32 v28, v37, v35 :: v_dual_sub_f32 v57, v48, v46
	v_dual_sub_f32 v52, v44, v46 :: v_dual_sub_f32 v43, v37, v36
	v_dual_sub_f32 v38, v47, v35 :: v_dual_add_f32 v53, v25, v42
	v_dual_sub_f32 v45, v35, v47 :: v_dual_add_f32 v54, v44, v46
	v_dual_sub_f32 v55, v36, v47 :: v_dual_sub_f32 v36, v42, v44
	v_dual_sub_f32 v56, v37, v35 :: v_dual_sub_f32 v59, v44, v42
	s_delay_alu instid0(VALU_DEP_4)
	v_dual_sub_f32 v75, v46, v48 :: v_dual_add_f32 v90, v29, v38
	v_dual_add_f32 v58, v42, v48 :: v_dual_add_f32 v37, v23, v37
	v_fma_f32 v41, -0.5, v28, v24
	v_fma_f32 v24, -0.5, v39, v24
	v_dual_add_f32 v91, v43, v45 :: v_dual_add_f32 v38, v53, v44
	v_fma_f32 v42, -0.5, v54, v25
	v_dual_add_f32 v54, v36, v57 :: v_dual_fmac_f32 v25, -0.5, v58
	v_dual_add_f32 v57, v59, v75 :: v_dual_sub_f32 v28, v33, v30
	v_dual_add_f32 v39, v27, v26 :: v_dual_add_f32 v78, v32, v31
	v_add_f32_e32 v59, v34, v22
	v_dual_sub_f32 v93, v30, v31 :: v_dual_add_f32 v94, v33, v30
	v_dual_sub_f32 v29, v32, v31 :: v_dual_sub_f32 v58, v22, v26
	v_dual_sub_f32 v53, v34, v27 :: v_dual_sub_f32 v92, v33, v32
	v_sub_f32_e32 v75, v27, v34
	v_dual_sub_f32 v76, v26, v22 :: v_dual_sub_f32 v95, v32, v33
	v_dual_sub_f32 v36, v34, v22 :: v_dual_add_f32 v97, v37, v35
	v_sub_f32_e32 v23, v27, v26
	v_sub_f32_e32 v96, v31, v30
	v_dual_fmamk_f32 v43, v51, 0x3f737871, v41 :: v_dual_add_f32 v98, v38, v46
	v_dual_fmac_f32 v41, 0xbf737871, v51 :: v_dual_fmamk_f32 v44, v55, 0xbf737871, v42
	v_fmac_f32_e32 v42, 0x3f737871, v55
	v_fmamk_f32 v45, v52, 0xbf737871, v24
	v_fmac_f32_e32 v24, 0x3f737871, v52
	v_fma_f32 v35, -0.5, v39, v20
	v_fma_f32 v77, -0.5, v59, v20
	;; [unrolled: 1-line block ×4, first 2 shown]
	v_fmamk_f32 v46, v56, 0x3f737871, v25
	v_fmac_f32_e32 v25, 0xbf737871, v56
	v_dual_add_f32 v39, v53, v58 :: v_dual_fmac_f32 v24, 0xbf167918, v51
	v_add_f32_e32 v58, v75, v76
	v_fmac_f32_e32 v41, 0xbf167918, v52
	v_fmamk_f32 v75, v28, 0xbf737871, v35
	v_fmamk_f32 v76, v36, 0x3f737871, v38
	v_fmac_f32_e32 v43, 0x3f167918, v52
	v_fmamk_f32 v52, v29, 0xbf737871, v77
	v_fmac_f32_e32 v77, 0x3f737871, v29
	;; [unrolled: 2-line block ×3, first 2 shown]
	v_dual_fmac_f32 v78, 0xbf737871, v23 :: v_dual_add_f32 v37, v92, v93
	v_add_f32_e32 v48, v98, v48
	v_dual_add_f32 v59, v95, v96 :: v_dual_fmac_f32 v46, 0xbf167918, v55
	v_dual_add_f32 v47, v97, v47 :: v_dual_fmac_f32 v44, 0xbf167918, v56
	v_dual_fmac_f32 v45, 0x3f167918, v51 :: v_dual_fmac_f32 v42, 0x3f167918, v56
	v_dual_fmac_f32 v25, 0x3f167918, v55 :: v_dual_fmac_f32 v52, 0x3f167918, v28
	v_fmac_f32_e32 v75, 0xbf167918, v29
	v_fmac_f32_e32 v77, 0xbf167918, v28
	;; [unrolled: 1-line block ×4, first 2 shown]
	v_dual_fmac_f32 v43, 0x3e9e377a, v90 :: v_dual_fmac_f32 v24, 0x3e9e377a, v91
	v_dual_fmac_f32 v41, 0x3e9e377a, v90 :: v_dual_fmac_f32 v46, 0x3e9e377a, v57
	;; [unrolled: 1-line block ×5, first 2 shown]
	v_fmac_f32_e32 v53, 0x3e9e377a, v59
	v_fmac_f32_e32 v78, 0x3e9e377a, v59
	v_mad_u16 v90, v49, 30, v50
	v_dual_fmac_f32 v42, 0x3e9e377a, v54 :: v_dual_fmac_f32 v25, 0x3e9e377a, v57
	ds_store_2addr_b64 v89, v[47:48], v[43:44] offset1:6
	ds_store_2addr_b64 v89, v[45:46], v[24:25] offset0:12 offset1:18
	ds_store_b64 v89, v[41:42] offset:192
	s_and_saveexec_b32 s10, s1
	s_cbranch_execz .LBB0_15
; %bb.14:
	v_dual_mul_f32 v24, 0x3f737871, v28 :: v_dual_add_f32 v21, v21, v33
	v_dual_mul_f32 v25, 0x3f167918, v29 :: v_dual_add_f32 v20, v20, v34
	s_delay_alu instid0(VALU_DEP_2) | instskip(NEXT) | instid1(VALU_DEP_2)
	v_dual_mul_f32 v23, 0x3f167918, v23 :: v_dual_add_f32 v24, v35, v24
	v_dual_add_f32 v21, v21, v32 :: v_dual_add_f32 v20, v20, v27
	v_mul_f32_e32 v28, 0x3f737871, v36
	s_delay_alu instid0(VALU_DEP_3) | instskip(NEXT) | instid1(VALU_DEP_3)
	v_dual_mul_f32 v27, 0x3e9e377a, v37 :: v_dual_add_f32 v24, v25, v24
	v_add_f32_e32 v25, v21, v31
	s_delay_alu instid0(VALU_DEP_3) | instskip(NEXT) | instid1(VALU_DEP_1)
	v_dual_mul_f32 v29, 0x3e9e377a, v39 :: v_dual_sub_f32 v28, v38, v28
	v_dual_sub_f32 v23, v28, v23 :: v_dual_and_b32 v28, 0xffff, v90
	v_add_f32_e32 v26, v20, v26
	s_delay_alu instid0(VALU_DEP_2) | instskip(NEXT) | instid1(VALU_DEP_3)
	v_dual_add_f32 v20, v29, v24 :: v_dual_add_f32 v21, v27, v23
	v_dual_add_f32 v23, v25, v30 :: v_dual_lshlrev_b32 v24, 3, v28
	s_delay_alu instid0(VALU_DEP_3)
	v_add_f32_e32 v22, v26, v22
	ds_store_2addr_b64 v24, v[22:23], v[20:21] offset1:6
	ds_store_2addr_b64 v24, v[52:53], v[77:78] offset0:12 offset1:18
	ds_store_b64 v24, v[75:76] offset:192
.LBB0_15:
	s_wait_alu 0xfffe
	s_or_b32 exec_lo, exec_lo, s10
	v_mul_lo_u16 v20, 0x89, v40
	global_wb scope:SCOPE_SE
	s_wait_dscnt 0x0
	s_barrier_signal -1
	s_barrier_wait -1
	global_inv scope:SCOPE_SE
	v_lshrrev_b16 v44, 12, v20
	s_delay_alu instid0(VALU_DEP_1) | instskip(NEXT) | instid1(VALU_DEP_1)
	v_mul_lo_u16 v20, v44, 30
	v_sub_nc_u16 v20, v80, v20
	s_delay_alu instid0(VALU_DEP_1) | instskip(NEXT) | instid1(VALU_DEP_1)
	v_and_b32_e32 v48, 0xff, v20
	v_mad_co_u64_u32 v[20:21], null, v48, 48, s[2:3]
	s_clause 0x2
	global_load_b128 v[28:31], v[20:21], off offset:224
	global_load_b128 v[24:27], v[20:21], off offset:240
	;; [unrolled: 1-line block ×3, first 2 shown]
	ds_load_2addr_b64 v[32:35], v79 offset1:210
	v_and_b32_e32 v46, 0xffff, v44
	v_add_nc_u32_e32 v92, 0xc00, v79
	v_add_nc_u32_e32 v93, 0x1a00, v79
	s_delay_alu instid0(VALU_DEP_3) | instskip(SKIP_2) | instid1(VALU_DEP_2)
	v_mul_u32_u24_e32 v49, 0xd2, v46
	v_mad_co_u64_u32 v[46:47], null, v80, 48, s[2:3]
	s_add_nc_u64 s[2:3], s[16:17], 0x2df0
	v_add_lshl_u32 v91, v49, v48, 3
	s_wait_loadcnt_dscnt 0x200
	v_mul_f32_e32 v48, v35, v29
	ds_load_2addr_b64 v[36:39], v92 offset0:36 offset1:246
	ds_load_2addr_b64 v[40:43], v93 offset0:8 offset1:218
	ds_load_b64 v[44:45], v79 offset:10080
	v_mul_f32_e32 v49, v34, v29
	global_wb scope:SCOPE_SE
	s_wait_loadcnt_dscnt 0x0
	v_fma_f32 v34, v34, v28, -v48
	s_barrier_signal -1
	s_barrier_wait -1
	global_inv scope:SCOPE_SE
	v_dual_fmac_f32 v49, v35, v28 :: v_dual_mul_f32 v50, v37, v31
	v_mul_f32_e32 v59, v42, v21
	v_dual_mul_f32 v51, v36, v31 :: v_dual_mul_f32 v54, v39, v25
	v_mul_f32_e32 v57, v40, v27
	v_dual_mul_f32 v55, v38, v25 :: v_dual_mul_f32 v56, v41, v27
	v_dual_mul_f32 v58, v43, v21 :: v_dual_mul_f32 v95, v44, v23
	s_delay_alu instid0(VALU_DEP_2) | instskip(SKIP_2) | instid1(VALU_DEP_4)
	v_dual_mul_f32 v94, v45, v23 :: v_dual_fmac_f32 v55, v39, v24
	v_fma_f32 v35, v36, v30, -v50
	v_fma_f32 v36, v38, v24, -v54
	v_fma_f32 v39, v42, v20, -v58
	v_fmac_f32_e32 v51, v37, v30
	v_fma_f32 v37, v40, v26, -v56
	v_fma_f32 v38, v44, v22, -v94
	v_fmac_f32_e32 v95, v45, v22
	v_fmac_f32_e32 v59, v43, v20
	v_add_f32_e32 v42, v35, v39
	v_add_f32_e32 v44, v36, v37
	;; [unrolled: 1-line block ×3, first 2 shown]
	v_fmac_f32_e32 v57, v41, v26
	v_dual_add_f32 v41, v49, v95 :: v_dual_sub_f32 v34, v34, v38
	v_dual_add_f32 v43, v51, v59 :: v_dual_sub_f32 v36, v37, v36
	s_delay_alu instid0(VALU_DEP_4) | instskip(SKIP_2) | instid1(VALU_DEP_3)
	v_dual_sub_f32 v35, v35, v39 :: v_dual_sub_f32 v50, v42, v40
	v_add_f32_e32 v48, v42, v40
	v_dual_sub_f32 v38, v49, v95 :: v_dual_add_f32 v45, v55, v57
	v_dual_add_f32 v49, v43, v41 :: v_dual_add_f32 v54, v36, v35
	v_dual_sub_f32 v39, v51, v59 :: v_dual_sub_f32 v40, v40, v44
	v_dual_sub_f32 v37, v57, v55 :: v_dual_sub_f32 v42, v44, v42
	;; [unrolled: 1-line block ×4, first 2 shown]
	v_dual_sub_f32 v43, v45, v43 :: v_dual_add_f32 v44, v44, v48
	v_sub_f32_e32 v35, v35, v34
	v_dual_add_f32 v45, v45, v49 :: v_dual_mul_f32 v48, 0x3d64c772, v42
	v_dual_add_f32 v55, v37, v39 :: v_dual_add_f32 v34, v54, v34
	v_sub_f32_e32 v57, v37, v39
	v_dual_sub_f32 v37, v38, v37 :: v_dual_mul_f32 v40, 0x3f4a47b2, v40
	v_sub_f32_e32 v39, v39, v38
	v_dual_mul_f32 v41, 0x3f4a47b2, v41 :: v_dual_add_f32 v32, v32, v44
	v_mul_f32_e32 v54, 0xbf08b237, v56
	v_dual_mul_f32 v56, 0x3f5ff5aa, v35 :: v_dual_add_f32 v33, v33, v45
	v_dual_add_f32 v38, v55, v38 :: v_dual_mul_f32 v49, 0x3d64c772, v43
	v_fmamk_f32 v42, v42, 0x3d64c772, v40
	v_fma_f32 v48, 0x3f3bfb3b, v50, -v48
	v_fma_f32 v40, 0xbf3bfb3b, v50, -v40
	v_fmamk_f32 v50, v36, 0x3eae86e6, v54
	v_fma_f32 v54, 0x3f5ff5aa, v35, -v54
	v_fma_f32 v56, 0xbeae86e6, v36, -v56
	v_dual_fmamk_f32 v35, v44, 0xbf955555, v32 :: v_dual_fmamk_f32 v36, v45, 0xbf955555, v33
	v_mul_f32_e32 v55, 0xbf08b237, v57
	v_fmamk_f32 v43, v43, 0x3d64c772, v41
	v_fma_f32 v41, 0xbf3bfb3b, v51, -v41
	v_mul_f32_e32 v57, 0x3f5ff5aa, v39
	v_add_f32_e32 v44, v42, v35
	v_add_f32_e32 v42, v48, v35
	v_fma_f32 v49, 0x3f3bfb3b, v51, -v49
	v_add_f32_e32 v48, v41, v36
	v_fma_f32 v57, 0xbeae86e6, v37, -v57
	v_fmamk_f32 v51, v37, 0x3eae86e6, v55
	v_fma_f32 v55, 0x3f5ff5aa, v39, -v55
	v_dual_fmac_f32 v50, 0x3ee1c552, v34 :: v_dual_add_f32 v45, v43, v36
	v_dual_fmac_f32 v54, 0x3ee1c552, v34 :: v_dual_add_f32 v43, v40, v35
	v_fmac_f32_e32 v57, 0x3ee1c552, v38
	v_fmac_f32_e32 v51, 0x3ee1c552, v38
	v_dual_fmac_f32 v56, 0x3ee1c552, v34 :: v_dual_add_f32 v41, v49, v36
	s_delay_alu instid0(VALU_DEP_3) | instskip(NEXT) | instid1(VALU_DEP_3)
	v_dual_add_f32 v36, v57, v43 :: v_dual_fmac_f32 v55, 0x3ee1c552, v38
	v_add_f32_e32 v34, v51, v44
	v_dual_sub_f32 v44, v44, v51 :: v_dual_sub_f32 v35, v45, v50
	s_delay_alu instid0(VALU_DEP_3)
	v_dual_sub_f32 v37, v48, v56 :: v_dual_add_f32 v40, v55, v42
	v_sub_f32_e32 v38, v42, v55
	v_add_f32_e32 v39, v54, v41
	v_dual_sub_f32 v41, v41, v54 :: v_dual_sub_f32 v42, v43, v57
	v_add_f32_e32 v43, v56, v48
	v_add_f32_e32 v45, v50, v45
	ds_store_2addr_b64 v91, v[32:33], v[34:35] offset1:30
	ds_store_2addr_b64 v91, v[36:37], v[38:39] offset0:60 offset1:90
	ds_store_2addr_b64 v91, v[40:41], v[42:43] offset0:120 offset1:150
	ds_store_b64 v91, v[44:45] offset:1440
	global_wb scope:SCOPE_SE
	s_wait_dscnt 0x0
	s_barrier_signal -1
	s_barrier_wait -1
	global_inv scope:SCOPE_SE
	s_clause 0x2
	global_load_b128 v[40:43], v[46:47], off offset:1664
	global_load_b128 v[36:39], v[46:47], off offset:1680
	;; [unrolled: 1-line block ×3, first 2 shown]
	ds_load_2addr_b64 v[44:47], v79 offset1:210
	ds_load_2addr_b64 v[48:51], v92 offset0:36 offset1:246
	ds_load_2addr_b64 v[54:57], v93 offset0:8 offset1:218
	ds_load_b64 v[58:59], v79 offset:10080
	s_wait_loadcnt_dscnt 0x203
	v_mul_f32_e32 v94, v47, v41
	s_wait_loadcnt_dscnt 0x101
	v_dual_mul_f32 v100, v55, v39 :: v_dual_mul_f32 v95, v46, v41
	s_wait_loadcnt_dscnt 0x0
	v_mul_f32_e32 v104, v59, v35
	v_mul_f32_e32 v96, v49, v43
	v_dual_mul_f32 v97, v48, v43 :: v_dual_mul_f32 v102, v57, v33
	v_fma_f32 v46, v46, v40, -v94
	v_fmac_f32_e32 v95, v47, v40
	s_delay_alu instid0(VALU_DEP_4) | instskip(SKIP_2) | instid1(VALU_DEP_2)
	v_fma_f32 v47, v48, v42, -v96
	v_mul_f32_e32 v99, v50, v37
	v_mul_f32_e32 v98, v51, v37
	v_fmac_f32_e32 v99, v51, v36
	v_fma_f32 v51, v56, v32, -v102
	s_delay_alu instid0(VALU_DEP_3) | instskip(SKIP_1) | instid1(VALU_DEP_3)
	v_fma_f32 v48, v50, v36, -v98
	v_fma_f32 v50, v58, v34, -v104
	v_dual_mul_f32 v103, v56, v33 :: v_dual_add_f32 v56, v47, v51
	v_fmac_f32_e32 v97, v49, v42
	v_fma_f32 v49, v54, v38, -v100
	s_delay_alu instid0(VALU_DEP_1) | instskip(NEXT) | instid1(VALU_DEP_1)
	v_dual_mul_f32 v105, v58, v35 :: v_dual_add_f32 v58, v48, v49
	v_dual_fmac_f32 v105, v59, v34 :: v_dual_sub_f32 v48, v49, v48
	v_mul_f32_e32 v101, v54, v39
	v_dual_add_f32 v54, v46, v50 :: v_dual_fmac_f32 v103, v57, v32
	v_sub_f32_e32 v46, v46, v50
	s_delay_alu instid0(VALU_DEP_4) | instskip(NEXT) | instid1(VALU_DEP_3)
	v_sub_f32_e32 v50, v95, v105
	v_sub_f32_e32 v96, v56, v54
	v_dual_add_f32 v94, v56, v54 :: v_dual_sub_f32 v47, v47, v51
	v_fmac_f32_e32 v101, v55, v38
	v_dual_add_f32 v55, v95, v105 :: v_dual_sub_f32 v54, v54, v58
	v_dual_sub_f32 v56, v58, v56 :: v_dual_add_f32 v57, v97, v103
	s_delay_alu instid0(VALU_DEP_4) | instskip(NEXT) | instid1(VALU_DEP_4)
	v_add_f32_e32 v58, v58, v94
	v_dual_add_f32 v98, v48, v47 :: v_dual_add_f32 v59, v99, v101
	v_sub_f32_e32 v100, v48, v47
	v_sub_f32_e32 v51, v97, v103
	v_dual_sub_f32 v49, v101, v99 :: v_dual_sub_f32 v48, v46, v48
	v_dual_add_f32 v95, v57, v55 :: v_dual_mul_f32 v54, 0x3f4a47b2, v54
	v_dual_sub_f32 v97, v57, v55 :: v_dual_mul_f32 v94, 0x3d64c772, v56
	v_sub_f32_e32 v55, v55, v59
	v_sub_f32_e32 v47, v47, v46
	v_add_f32_e32 v46, v98, v46
	v_dual_mul_f32 v98, 0xbf08b237, v100 :: v_dual_sub_f32 v57, v59, v57
	v_dual_add_f32 v99, v49, v51 :: v_dual_add_f32 v44, v44, v58
	v_dual_sub_f32 v101, v49, v51 :: v_dual_fmamk_f32 v56, v56, 0x3d64c772, v54
	v_sub_f32_e32 v49, v50, v49
	v_fma_f32 v94, 0x3f3bfb3b, v96, -v94
	v_fma_f32 v54, 0xbf3bfb3b, v96, -v54
	v_dual_fmamk_f32 v96, v48, 0x3eae86e6, v98 :: v_dual_add_f32 v59, v59, v95
	v_fma_f32 v98, 0x3f5ff5aa, v47, -v98
	v_mul_f32_e32 v100, 0x3f5ff5aa, v47
	s_delay_alu instid0(VALU_DEP_3) | instskip(NEXT) | instid1(VALU_DEP_3)
	v_dual_fmac_f32 v96, 0x3ee1c552, v46 :: v_dual_add_f32 v45, v45, v59
	v_fmac_f32_e32 v98, 0x3ee1c552, v46
	v_fmamk_f32 v47, v58, 0xbf955555, v44
	s_delay_alu instid0(VALU_DEP_4) | instskip(NEXT) | instid1(VALU_DEP_4)
	v_fma_f32 v100, 0xbeae86e6, v48, -v100
	v_fmamk_f32 v48, v59, 0xbf955555, v45
	s_delay_alu instid0(VALU_DEP_3) | instskip(SKIP_3) | instid1(VALU_DEP_3)
	v_dual_sub_f32 v51, v51, v50 :: v_dual_add_f32 v102, v56, v47
	v_dual_add_f32 v50, v99, v50 :: v_dual_mul_f32 v55, 0x3f4a47b2, v55
	v_dual_mul_f32 v95, 0x3d64c772, v57 :: v_dual_add_f32 v56, v94, v47
	v_dual_mul_f32 v99, 0xbf08b237, v101 :: v_dual_add_f32 v54, v54, v47
	v_fmamk_f32 v57, v57, 0x3d64c772, v55
	s_delay_alu instid0(VALU_DEP_3) | instskip(SKIP_1) | instid1(VALU_DEP_4)
	v_fma_f32 v95, 0x3f3bfb3b, v97, -v95
	v_fma_f32 v55, 0xbf3bfb3b, v97, -v55
	v_fmamk_f32 v97, v49, 0x3eae86e6, v99
	v_fma_f32 v99, 0x3f5ff5aa, v51, -v99
	s_delay_alu instid0(VALU_DEP_2) | instskip(NEXT) | instid1(VALU_DEP_2)
	v_fmac_f32_e32 v97, 0x3ee1c552, v50
	v_fmac_f32_e32 v99, 0x3ee1c552, v50
	v_mul_f32_e32 v101, 0x3f5ff5aa, v51
	s_delay_alu instid0(VALU_DEP_1) | instskip(NEXT) | instid1(VALU_DEP_1)
	v_fma_f32 v101, 0xbeae86e6, v49, -v101
	v_fmac_f32_e32 v101, 0x3ee1c552, v50
	s_delay_alu instid0(VALU_DEP_1) | instskip(SKIP_2) | instid1(VALU_DEP_2)
	v_dual_add_f32 v55, v55, v48 :: v_dual_sub_f32 v58, v54, v101
	v_dual_fmac_f32 v100, 0x3ee1c552, v46 :: v_dual_add_f32 v103, v57, v48
	v_dual_add_f32 v57, v95, v48 :: v_dual_add_f32 v46, v97, v102
	v_dual_add_f32 v48, v101, v54 :: v_dual_sub_f32 v49, v55, v100
	s_delay_alu instid0(VALU_DEP_3) | instskip(NEXT) | instid1(VALU_DEP_3)
	v_sub_f32_e32 v47, v103, v96
	v_add_f32_e32 v51, v98, v57
	v_sub_f32_e32 v54, v102, v97
	v_sub_f32_e32 v50, v56, v99
	v_dual_add_f32 v56, v99, v56 :: v_dual_sub_f32 v57, v57, v98
	v_add_f32_e32 v59, v100, v55
	v_add_f32_e32 v55, v96, v103
	ds_store_2addr_b64 v79, v[44:45], v[46:47] offset1:210
	ds_store_2addr_b64 v92, v[48:49], v[50:51] offset0:36 offset1:246
	ds_store_2addr_b64 v93, v[56:57], v[58:59] offset0:8 offset1:218
	ds_store_b64 v79, v[54:55] offset:10080
	global_wb scope:SCOPE_SE
	s_wait_dscnt 0x0
	s_barrier_signal -1
	s_barrier_wait -1
	global_inv scope:SCOPE_SE
	s_clause 0x5
	global_load_b64 v[48:49], v[61:62], off offset:11760
	global_load_b64 v[50:51], v79, s[2:3] offset:9240
	global_load_b64 v[92:93], v79, s[2:3] offset:1680
	;; [unrolled: 1-line block ×5, first 2 shown]
	ds_load_2addr_b64 v[44:47], v79 offset1:210
	ds_load_b64 v[56:57], v79 offset:9240
	ds_load_b64 v[100:101], v79 offset:3360
	s_wait_loadcnt_dscnt 0x401
	v_dual_mul_f32 v103, v56, v51 :: v_dual_mul_f32 v58, v45, v49
	v_mul_f32_e32 v59, v44, v49
	v_mul_f32_e32 v49, v57, v51
	s_delay_alu instid0(VALU_DEP_3)
	v_fmac_f32_e32 v103, v57, v50
	v_add_nc_u32_e32 v51, 0x600, v79
	v_fma_f32 v58, v44, v48, -v58
	v_dual_fmac_f32 v59, v45, v48 :: v_dual_add_nc_u32 v48, 0x1600, v79
	v_fma_f32 v102, v56, v50, -v49
	s_wait_loadcnt 0x3
	v_mul_f32_e32 v44, v47, v93
	v_mul_f32_e32 v45, v46, v93
	ds_store_b64 v79, v[58:59]
	ds_load_2addr_b64 v[56:59], v48 offset0:31 offset1:241
	s_wait_loadcnt_dscnt 0x202
	v_mul_f32_e32 v49, v101, v95
	v_mul_f32_e32 v50, v100, v95
	v_fma_f32 v44, v46, v92, -v44
	v_fmac_f32_e32 v45, v47, v92
	s_delay_alu instid0(VALU_DEP_4) | instskip(NEXT) | instid1(VALU_DEP_4)
	v_fma_f32 v49, v100, v94, -v49
	v_fmac_f32_e32 v50, v101, v94
	s_wait_loadcnt_dscnt 0x0
	v_mul_f32_e32 v92, v59, v99
	v_mul_f32_e32 v46, v57, v97
	v_mul_f32_e32 v47, v56, v97
	v_mul_f32_e32 v93, v58, v99
	s_delay_alu instid0(VALU_DEP_4) | instskip(NEXT) | instid1(VALU_DEP_4)
	v_fma_f32 v92, v58, v98, -v92
	v_fma_f32 v46, v56, v96, -v46
	s_delay_alu instid0(VALU_DEP_4) | instskip(NEXT) | instid1(VALU_DEP_4)
	v_fmac_f32_e32 v47, v57, v96
	v_fmac_f32_e32 v93, v59, v98
	ds_store_2addr_b64 v51, v[44:45], v[49:50] offset0:18 offset1:228
	ds_store_2addr_b64 v48, v[46:47], v[92:93] offset0:31 offset1:241
	ds_store_b64 v79, v[102:103] offset:9240
	s_and_saveexec_b32 s10, vcc_lo
	s_cbranch_execz .LBB0_17
; %bb.16:
	s_wait_alu 0xfffe
	v_add_co_u32 v44, s2, s2, v79
	s_wait_alu 0xf1ff
	v_add_co_ci_u32_e64 v45, null, s3, 0, s2
	s_clause 0x1
	global_load_b64 v[46:47], v[44:45], off offset:5040
	global_load_b64 v[44:45], v[44:45], off offset:10920
	ds_load_b64 v[49:50], v79 offset:5040
	ds_load_b64 v[56:57], v79 offset:10920
	s_wait_loadcnt_dscnt 0x0
	v_dual_mul_f32 v51, v50, v47 :: v_dual_mul_f32 v92, v57, v45
	v_mul_f32_e32 v59, v49, v47
	v_mul_f32_e32 v47, v56, v45
	s_delay_alu instid0(VALU_DEP_3) | instskip(NEXT) | instid1(VALU_DEP_3)
	v_fma_f32 v58, v49, v46, -v51
	v_fmac_f32_e32 v59, v50, v46
	v_fma_f32 v46, v56, v44, -v92
	s_delay_alu instid0(VALU_DEP_4)
	v_fmac_f32_e32 v47, v57, v44
	ds_store_b64 v79, v[58:59] offset:5040
	ds_store_b64 v79, v[46:47] offset:10920
.LBB0_17:
	s_wait_alu 0xfffe
	s_or_b32 exec_lo, exec_lo, s10
	global_wb scope:SCOPE_SE
	s_wait_dscnt 0x0
	s_barrier_signal -1
	s_barrier_wait -1
	global_inv scope:SCOPE_SE
	ds_load_2addr_b64 v[44:47], v79 offset1:210
	ds_load_2addr_b64 v[48:51], v48 offset0:31 offset1:241
	ds_load_b64 v[56:57], v79 offset:3360
	ds_load_b64 v[58:59], v79 offset:9240
	s_and_saveexec_b32 s2, vcc_lo
	s_cbranch_execz .LBB0_19
; %bb.18:
	ds_load_b64 v[54:55], v79 offset:5040
	ds_load_b64 v[52:53], v79 offset:10920
.LBB0_19:
	s_wait_alu 0xfffe
	s_or_b32 exec_lo, exec_lo, s2
	s_wait_dscnt 0x2
	v_dual_sub_f32 v94, v44, v48 :: v_dual_sub_f32 v95, v45, v49
	v_dual_sub_f32 v98, v46, v50 :: v_dual_sub_f32 v99, v47, v51
	s_wait_dscnt 0x0
	v_dual_sub_f32 v50, v54, v52 :: v_dual_sub_f32 v51, v55, v53
	v_dual_sub_f32 v58, v56, v58 :: v_dual_sub_f32 v59, v57, v59
	v_fma_f32 v92, v44, 2.0, -v94
	v_fma_f32 v93, v45, 2.0, -v95
	s_delay_alu instid0(VALU_DEP_4)
	v_fma_f32 v48, v54, 2.0, -v50
	v_fma_f32 v49, v55, 2.0, -v51
	;; [unrolled: 1-line block ×6, first 2 shown]
	global_wb scope:SCOPE_SE
	s_barrier_signal -1
	s_barrier_wait -1
	global_inv scope:SCOPE_SE
	ds_store_b128 v85, v[92:95]
	ds_store_b128 v86, v[96:99]
	ds_store_b128 v88, v[56:59]
	s_and_saveexec_b32 s2, vcc_lo
	s_cbranch_execz .LBB0_21
; %bb.20:
	ds_store_b128 v84, v[48:51]
.LBB0_21:
	s_wait_alu 0xfffe
	s_or_b32 exec_lo, exec_lo, s2
	v_add_nc_u32_e32 v52, 0xe00, v79
	v_add_nc_u32_e32 v53, 0x1e00, v79
	global_wb scope:SCOPE_SE
	s_wait_dscnt 0x0
	s_barrier_signal -1
	s_barrier_wait -1
	global_inv scope:SCOPE_SE
	ds_load_2addr_b64 v[44:47], v79 offset1:210
	ds_load_2addr_b64 v[56:59], v52 offset0:42 offset1:252
	ds_load_2addr_b64 v[52:55], v53 offset0:20 offset1:230
	s_and_saveexec_b32 s2, s0
	s_cbranch_execz .LBB0_23
; %bb.22:
	ds_load_b64 v[48:49], v79 offset:3360
	ds_load_b64 v[50:51], v79 offset:7280
	;; [unrolled: 1-line block ×3, first 2 shown]
.LBB0_23:
	s_wait_alu 0xfffe
	s_or_b32 exec_lo, exec_lo, s2
	s_wait_dscnt 0x1
	v_mul_f32_e32 v84, v9, v57
	s_wait_dscnt 0x0
	v_dual_mul_f32 v85, v9, v56 :: v_dual_mul_f32 v86, v11, v53
	v_mul_f32_e32 v88, v11, v52
	global_wb scope:SCOPE_SE
	v_fmac_f32_e32 v84, v8, v56
	v_fma_f32 v56, v8, v57, -v85
	v_dual_mul_f32 v57, v9, v59 :: v_dual_fmac_f32 v86, v10, v52
	v_mul_f32_e32 v52, v9, v58
	v_fma_f32 v53, v10, v53, -v88
	v_mul_f32_e32 v85, v11, v55
	s_delay_alu instid0(VALU_DEP_4) | instskip(SKIP_4) | instid1(VALU_DEP_2)
	v_fmac_f32_e32 v57, v8, v58
	v_mul_f32_e32 v58, v11, v54
	s_barrier_signal -1
	s_barrier_wait -1
	v_dual_fmac_f32 v85, v10, v54 :: v_dual_mul_f32 v88, v9, v51
	v_fma_f32 v55, v10, v55, -v58
	v_mul_f32_e32 v58, v11, v78
	v_mul_f32_e32 v9, v9, v50
	;; [unrolled: 1-line block ×3, first 2 shown]
	v_fma_f32 v59, v8, v59, -v52
	v_fmac_f32_e32 v88, v8, v50
	v_fmac_f32_e32 v58, v10, v77
	v_fma_f32 v8, v8, v51, -v9
	v_add_f32_e32 v9, v84, v86
	v_add_f32_e32 v50, v44, v84
	v_fma_f32 v11, v10, v78, -v11
	v_dual_add_f32 v10, v56, v53 :: v_dual_add_f32 v51, v45, v56
	s_delay_alu instid0(VALU_DEP_4)
	v_fma_f32 v44, -0.5, v9, v44
	v_sub_f32_e32 v9, v56, v53
	v_add_f32_e32 v54, v46, v57
	global_inv scope:SCOPE_SE
	v_dual_add_f32 v51, v51, v53 :: v_dual_sub_f32 v78, v88, v58
	v_fmamk_f32 v52, v9, 0xbf5db3d7, v44
	v_fmac_f32_e32 v44, 0x3f5db3d7, v9
	v_dual_add_f32 v9, v57, v85 :: v_dual_add_f32 v50, v50, v86
	s_delay_alu instid0(VALU_DEP_1) | instskip(SKIP_3) | instid1(VALU_DEP_3)
	v_fma_f32 v46, -0.5, v9, v46
	v_sub_f32_e32 v9, v59, v55
	v_fma_f32 v45, -0.5, v10, v45
	v_sub_f32_e32 v10, v84, v86
	v_fmamk_f32 v56, v9, 0xbf5db3d7, v46
	s_delay_alu instid0(VALU_DEP_2) | instskip(SKIP_3) | instid1(VALU_DEP_3)
	v_dual_fmac_f32 v46, 0x3f5db3d7, v9 :: v_dual_fmamk_f32 v53, v10, 0x3f5db3d7, v45
	v_dual_fmac_f32 v45, 0xbf5db3d7, v10 :: v_dual_add_f32 v10, v59, v55
	v_add_f32_e32 v9, v88, v58
	v_add_f32_e32 v59, v47, v59
	v_dual_fmac_f32 v47, -0.5, v10 :: v_dual_sub_f32 v10, v57, v85
	s_delay_alu instid0(VALU_DEP_2) | instskip(SKIP_2) | instid1(VALU_DEP_4)
	v_add_f32_e32 v55, v59, v55
	v_dual_add_f32 v59, v88, v48 :: v_dual_add_f32 v54, v54, v85
	v_add_f32_e32 v77, v8, v49
	v_fmamk_f32 v57, v10, 0x3f5db3d7, v47
	v_dual_fmac_f32 v47, 0xbf5db3d7, v10 :: v_dual_add_f32 v10, v8, v11
	v_dual_fmac_f32 v48, -0.5, v9 :: v_dual_sub_f32 v9, v8, v11
	s_delay_alu instid0(VALU_DEP_4)
	v_add_f32_e32 v11, v11, v77
	ds_store_2addr_b64 v87, v[50:51], v[52:53] offset1:2
	ds_store_b64 v87, v[44:45] offset:32
	ds_store_2addr_b64 v83, v[54:55], v[56:57] offset1:2
	ds_store_b64 v83, v[46:47] offset:32
	v_fmac_f32_e32 v49, -0.5, v10
	v_add_f32_e32 v10, v59, v58
	v_fmamk_f32 v8, v9, 0xbf5db3d7, v48
	s_delay_alu instid0(VALU_DEP_3)
	v_dual_fmac_f32 v48, 0x3f5db3d7, v9 :: v_dual_fmamk_f32 v9, v78, 0x3f5db3d7, v49
	v_fmac_f32_e32 v49, 0xbf5db3d7, v78
	s_and_saveexec_b32 s2, s0
	s_cbranch_execz .LBB0_25
; %bb.24:
	v_mul_u32_u24_e32 v44, 6, v82
	s_delay_alu instid0(VALU_DEP_1) | instskip(NEXT) | instid1(VALU_DEP_1)
	v_or_b32_e32 v44, v44, v81
	v_lshlrev_b32_e32 v44, 3, v44
	ds_store_2addr_b64 v44, v[10:11], v[8:9] offset1:2
	ds_store_b64 v44, v[48:49] offset:32
.LBB0_25:
	s_wait_alu 0xfffe
	s_or_b32 exec_lo, exec_lo, s2
	global_wb scope:SCOPE_SE
	s_wait_dscnt 0x0
	s_barrier_signal -1
	s_barrier_wait -1
	global_inv scope:SCOPE_SE
	ds_load_b64 v[44:45], v79
	ds_load_b64 v[54:55], v79 offset:2352
	ds_load_b64 v[56:57], v79 offset:4704
	;; [unrolled: 1-line block ×4, first 2 shown]
	s_and_saveexec_b32 s0, s1
	s_cbranch_execz .LBB0_27
; %bb.26:
	ds_load_b64 v[46:47], v79 offset:1680
	ds_load_b64 v[10:11], v79 offset:4032
	;; [unrolled: 1-line block ×5, first 2 shown]
.LBB0_27:
	s_wait_alu 0xfffe
	s_or_b32 exec_lo, exec_lo, s0
	s_wait_dscnt 0x1
	v_dual_mul_f32 v58, v19, v57 :: v_dual_mul_f32 v59, v13, v51
	v_mul_f32_e32 v77, v17, v55
	v_mul_f32_e32 v17, v17, v54
	global_wb scope:SCOPE_SE
	s_wait_dscnt 0x0
	v_dual_fmac_f32 v58, v18, v56 :: v_dual_fmac_f32 v59, v12, v50
	v_mul_f32_e32 v19, v19, v56
	v_dual_mul_f32 v56, v15, v52 :: v_dual_fmac_f32 v77, v16, v54
	v_fma_f32 v54, v16, v55, -v17
	s_delay_alu instid0(VALU_DEP_4) | instskip(NEXT) | instid1(VALU_DEP_4)
	v_add_f32_e32 v16, v58, v59
	v_fma_f32 v18, v18, v57, -v19
	s_delay_alu instid0(VALU_DEP_4)
	v_fma_f32 v19, v14, v53, -v56
	v_mul_f32_e32 v53, v15, v53
	v_mul_f32_e32 v17, v13, v50
	v_fma_f32 v13, -0.5, v16, v44
	s_barrier_signal -1
	v_sub_f32_e32 v16, v54, v19
	v_fmac_f32_e32 v53, v14, v52
	s_barrier_wait -1
	global_inv scope:SCOPE_SE
	v_sub_f32_e32 v56, v58, v59
	v_dual_sub_f32 v50, v53, v59 :: v_dual_add_f32 v15, v44, v77
	s_delay_alu instid0(VALU_DEP_1) | instskip(SKIP_1) | instid1(VALU_DEP_2)
	v_dual_add_f32 v14, v15, v58 :: v_dual_fmamk_f32 v15, v16, 0xbf737871, v13
	v_dual_add_f32 v52, v77, v53 :: v_dual_fmac_f32 v13, 0x3f737871, v16
	v_dual_sub_f32 v55, v59, v53 :: v_dual_add_f32 v14, v14, v59
	v_fma_f32 v12, v12, v51, -v17
	v_sub_f32_e32 v17, v77, v58
	s_delay_alu instid0(VALU_DEP_4) | instskip(SKIP_1) | instid1(VALU_DEP_3)
	v_fma_f32 v44, -0.5, v52, v44
	v_sub_f32_e32 v52, v58, v77
	v_dual_sub_f32 v51, v18, v12 :: v_dual_add_f32 v50, v17, v50
	s_delay_alu instid0(VALU_DEP_2) | instskip(NEXT) | instid1(VALU_DEP_2)
	v_dual_add_f32 v52, v52, v55 :: v_dual_add_f32 v17, v14, v53
	v_fmac_f32_e32 v15, 0xbf167918, v51
	v_dual_fmac_f32 v13, 0x3f167918, v51 :: v_dual_add_f32 v14, v18, v12
	s_delay_alu instid0(VALU_DEP_2) | instskip(NEXT) | instid1(VALU_DEP_2)
	v_fmac_f32_e32 v15, 0x3e9e377a, v50
	v_fmac_f32_e32 v13, 0x3e9e377a, v50
	v_fmamk_f32 v50, v51, 0x3f737871, v44
	v_fmac_f32_e32 v44, 0xbf737871, v51
	v_fma_f32 v14, -0.5, v14, v45
	s_delay_alu instid0(VALU_DEP_3) | instskip(NEXT) | instid1(VALU_DEP_3)
	v_fmac_f32_e32 v50, 0xbf167918, v16
	v_dual_fmac_f32 v44, 0x3f167918, v16 :: v_dual_add_f32 v51, v45, v54
	s_delay_alu instid0(VALU_DEP_2) | instskip(NEXT) | instid1(VALU_DEP_2)
	v_fmac_f32_e32 v50, 0x3e9e377a, v52
	v_dual_fmac_f32 v44, 0x3e9e377a, v52 :: v_dual_add_f32 v51, v51, v18
	s_delay_alu instid0(VALU_DEP_1) | instskip(NEXT) | instid1(VALU_DEP_1)
	v_dual_sub_f32 v53, v77, v53 :: v_dual_add_f32 v52, v51, v12
	v_dual_add_f32 v55, v54, v19 :: v_dual_fmamk_f32 v16, v53, 0x3f737871, v14
	v_dual_fmac_f32 v14, 0xbf737871, v53 :: v_dual_sub_f32 v57, v19, v12
	v_sub_f32_e32 v12, v12, v19
	s_delay_alu instid0(VALU_DEP_3) | instskip(SKIP_3) | instid1(VALU_DEP_2)
	v_fmac_f32_e32 v45, -0.5, v55
	v_sub_f32_e32 v55, v54, v18
	v_sub_f32_e32 v18, v18, v54
	v_fmac_f32_e32 v16, 0x3f167918, v56
	v_add_f32_e32 v12, v18, v12
	v_add_f32_e32 v18, v52, v19
	v_dual_fmamk_f32 v51, v56, 0xbf737871, v45 :: v_dual_add_f32 v54, v55, v57
	v_fmac_f32_e32 v45, 0x3f737871, v56
	v_fmac_f32_e32 v14, 0xbf167918, v56
	s_delay_alu instid0(VALU_DEP_3) | instskip(NEXT) | instid1(VALU_DEP_4)
	v_fmac_f32_e32 v51, 0x3f167918, v53
	v_fmac_f32_e32 v16, 0x3e9e377a, v54
	s_delay_alu instid0(VALU_DEP_4) | instskip(NEXT) | instid1(VALU_DEP_3)
	v_fmac_f32_e32 v45, 0xbf167918, v53
	v_dual_fmac_f32 v14, 0x3e9e377a, v54 :: v_dual_fmac_f32 v51, 0x3e9e377a, v12
	s_delay_alu instid0(VALU_DEP_2)
	v_fmac_f32_e32 v45, 0x3e9e377a, v12
	ds_store_2addr_b64 v89, v[17:18], v[15:16] offset1:6
	ds_store_2addr_b64 v89, v[50:51], v[44:45] offset0:12 offset1:18
	ds_store_b64 v89, v[13:14] offset:192
	s_and_saveexec_b32 s0, s1
	s_cbranch_execz .LBB0_29
; %bb.28:
	v_dual_mul_f32 v12, v5, v10 :: v_dual_mul_f32 v13, v7, v8
	v_dual_mul_f32 v14, v3, v75 :: v_dual_mul_f32 v15, v1, v48
	v_mul_f32_e32 v16, v3, v76
	s_delay_alu instid0(VALU_DEP_3) | instskip(NEXT) | instid1(VALU_DEP_4)
	v_fma_f32 v12, v4, v11, -v12
	v_fma_f32 v13, v6, v9, -v13
	v_mul_f32_e32 v11, v5, v11
	v_fma_f32 v15, v0, v49, -v15
	v_dual_mul_f32 v17, v7, v9 :: v_dual_fmac_f32 v16, v2, v75
	s_delay_alu instid0(VALU_DEP_3) | instskip(NEXT) | instid1(VALU_DEP_3)
	v_dual_mul_f32 v18, v1, v49 :: v_dual_fmac_f32 v11, v4, v10
	v_add_f32_e32 v1, v13, v15
	v_fma_f32 v9, v2, v76, -v14
	s_delay_alu instid0(VALU_DEP_4) | instskip(NEXT) | instid1(VALU_DEP_4)
	v_fmac_f32_e32 v17, v6, v8
	v_fmac_f32_e32 v18, v0, v48
	v_sub_f32_e32 v0, v12, v13
	v_sub_f32_e32 v4, v11, v16
	v_fma_f32 v1, -0.5, v1, v47
	v_sub_f32_e32 v10, v12, v9
	v_dual_sub_f32 v6, v17, v18 :: v_dual_sub_f32 v7, v11, v17
	v_add_f32_e32 v5, v17, v18
	s_delay_alu instid0(VALU_DEP_4) | instskip(SKIP_2) | instid1(VALU_DEP_3)
	v_dual_sub_f32 v2, v9, v15 :: v_dual_fmamk_f32 v3, v4, 0x3f737871, v1
	v_sub_f32_e32 v19, v13, v15
	v_dual_sub_f32 v44, v13, v12 :: v_dual_sub_f32 v45, v15, v9
	v_dual_add_f32 v8, v2, v0 :: v_dual_fmac_f32 v3, 0x3f167918, v6
	v_fma_f32 v0, -0.5, v5, v46
	v_dual_add_f32 v5, v9, v12 :: v_dual_sub_f32 v14, v16, v18
	v_fmac_f32_e32 v1, 0xbf737871, v4
	s_delay_alu instid0(VALU_DEP_4) | instskip(NEXT) | instid1(VALU_DEP_4)
	v_fmac_f32_e32 v3, 0x3e9e377a, v8
	v_fmamk_f32 v2, v10, 0xbf737871, v0
	s_delay_alu instid0(VALU_DEP_4) | instskip(SKIP_2) | instid1(VALU_DEP_3)
	v_fma_f32 v5, -0.5, v5, v47
	v_add_f32_e32 v14, v14, v7
	v_dual_add_f32 v12, v47, v12 :: v_dual_fmac_f32 v1, 0xbf167918, v6
	v_dual_add_f32 v44, v45, v44 :: v_dual_fmamk_f32 v7, v6, 0x3f737871, v5
	v_fmac_f32_e32 v5, 0xbf737871, v6
	v_fmac_f32_e32 v2, 0xbf167918, v19
	s_delay_alu instid0(VALU_DEP_4)
	v_fmac_f32_e32 v1, 0x3e9e377a, v8
	v_fmac_f32_e32 v0, 0x3f737871, v10
	;; [unrolled: 1-line block ×4, first 2 shown]
	v_add_f32_e32 v4, v13, v12
	v_add_f32_e32 v12, v16, v11
	v_sub_f32_e32 v13, v17, v11
	v_add_f32_e32 v11, v46, v11
	v_fmac_f32_e32 v5, 0x3e9e377a, v44
	v_add_f32_e32 v6, v15, v4
	v_fma_f32 v4, -0.5, v12, v46
	v_sub_f32_e32 v12, v18, v16
	v_add_f32_e32 v8, v17, v11
	v_fmac_f32_e32 v0, 0x3f167918, v19
	v_dual_fmac_f32 v2, 0x3e9e377a, v14 :: v_dual_fmac_f32 v7, 0x3e9e377a, v44
	s_delay_alu instid0(VALU_DEP_4)
	v_add_f32_e32 v11, v12, v13
	v_dual_add_f32 v9, v9, v6 :: v_dual_fmamk_f32 v6, v19, 0xbf737871, v4
	v_fmac_f32_e32 v4, 0x3f737871, v19
	v_add_f32_e32 v8, v18, v8
	v_and_b32_e32 v12, 0xffff, v90
	v_fmac_f32_e32 v0, 0x3e9e377a, v14
	v_fmac_f32_e32 v6, 0x3f167918, v10
	;; [unrolled: 1-line block ×3, first 2 shown]
	v_add_f32_e32 v8, v16, v8
	v_lshlrev_b32_e32 v10, 3, v12
	s_delay_alu instid0(VALU_DEP_4) | instskip(NEXT) | instid1(VALU_DEP_4)
	v_fmac_f32_e32 v6, 0x3e9e377a, v11
	v_fmac_f32_e32 v4, 0x3e9e377a, v11
	ds_store_2addr_b64 v10, v[8:9], v[2:3] offset1:6
	ds_store_2addr_b64 v10, v[4:5], v[6:7] offset0:12 offset1:18
	ds_store_b64 v10, v[0:1] offset:192
.LBB0_29:
	s_wait_alu 0xfffe
	s_or_b32 exec_lo, exec_lo, s0
	global_wb scope:SCOPE_SE
	s_wait_dscnt 0x0
	s_barrier_signal -1
	s_barrier_wait -1
	global_inv scope:SCOPE_SE
	ds_load_2addr_b64 v[0:3], v79 offset1:210
	ds_load_b64 v[12:13], v79 offset:10080
	v_add_nc_u32_e32 v14, 0xc00, v79
	v_add_nc_u32_e32 v15, 0x1a00, v79
	s_mov_b32 s2, 0x3adcd25f
	s_mov_b32 s3, 0x3f464a89
	s_wait_dscnt 0x0
	v_dual_mul_f32 v17, v29, v2 :: v_dual_mul_f32 v18, v23, v13
	ds_load_2addr_b64 v[4:7], v14 offset0:36 offset1:246
	ds_load_2addr_b64 v[8:11], v15 offset0:8 offset1:218
	v_dual_mul_f32 v16, v29, v3 :: v_dual_mul_f32 v19, v23, v12
	global_wb scope:SCOPE_SE
	s_wait_dscnt 0x0
	s_barrier_signal -1
	s_barrier_wait -1
	v_fmac_f32_e32 v16, v28, v2
	v_fma_f32 v2, v28, v3, -v17
	global_inv scope:SCOPE_SE
	v_fmac_f32_e32 v18, v22, v12
	v_fma_f32 v12, v22, v13, -v19
	v_mul_f32_e32 v3, v31, v5
	v_mul_f32_e32 v17, v31, v4
	v_dual_mul_f32 v23, v25, v7 :: v_dual_mul_f32 v28, v27, v9
	v_mul_f32_e32 v25, v25, v6
	v_mul_f32_e32 v27, v27, v8
	;; [unrolled: 1-line block ×4, first 2 shown]
	v_fmac_f32_e32 v3, v30, v4
	v_fmac_f32_e32 v28, v26, v8
	v_add_f32_e32 v8, v16, v18
	v_fma_f32 v4, v30, v5, -v17
	v_fmac_f32_e32 v23, v24, v6
	v_fma_f32 v5, v24, v7, -v25
	v_fmac_f32_e32 v29, v20, v10
	v_sub_f32_e32 v10, v16, v18
	v_fma_f32 v6, v26, v9, -v27
	v_add_f32_e32 v9, v2, v12
	v_sub_f32_e32 v2, v2, v12
	v_fma_f32 v7, v20, v11, -v21
	v_mad_co_u64_u32 v[26:27], null, s4, v80, 0
	s_delay_alu instid0(VALU_DEP_2) | instskip(SKIP_1) | instid1(VALU_DEP_1)
	v_dual_add_f32 v13, v5, v6 :: v_dual_add_f32 v12, v4, v7
	v_dual_add_f32 v11, v3, v29 :: v_dual_sub_f32 v4, v4, v7
	v_dual_sub_f32 v5, v6, v5 :: v_dual_add_f32 v6, v11, v8
	v_dual_sub_f32 v16, v28, v23 :: v_dual_add_f32 v7, v23, v28
	s_delay_alu instid0(VALU_DEP_4) | instskip(NEXT) | instid1(VALU_DEP_2)
	v_dual_add_f32 v17, v12, v9 :: v_dual_sub_f32 v18, v11, v8
	v_dual_sub_f32 v3, v3, v29 :: v_dual_sub_f32 v8, v8, v7
	s_delay_alu instid0(VALU_DEP_1)
	v_add_f32_e32 v20, v16, v3
	v_dual_sub_f32 v19, v12, v9 :: v_dual_add_f32 v6, v7, v6
	v_sub_f32_e32 v11, v7, v11
	v_sub_f32_e32 v22, v16, v3
	v_dual_sub_f32 v16, v10, v16 :: v_dual_sub_f32 v3, v3, v10
	v_dual_mul_f32 v8, 0x3f4a47b2, v8 :: v_dual_add_f32 v7, v13, v17
	v_sub_f32_e32 v9, v9, v13
	v_sub_f32_e32 v12, v13, v12
	v_dual_add_f32 v21, v5, v4 :: v_dual_add_f32 v0, v0, v6
	v_dual_sub_f32 v23, v5, v4 :: v_dual_add_f32 v10, v20, v10
	v_mul_f32_e32 v20, 0x3f08b237, v22
	v_mul_f32_e32 v22, 0xbf5ff5aa, v3
	s_delay_alu instid0(VALU_DEP_4) | instskip(SKIP_1) | instid1(VALU_DEP_2)
	v_dual_add_f32 v1, v1, v7 :: v_dual_fmamk_f32 v6, v6, 0xbf955555, v0
	v_dual_sub_f32 v4, v4, v2 :: v_dual_sub_f32 v5, v2, v5
	v_dual_add_f32 v2, v21, v2 :: v_dual_fmamk_f32 v7, v7, 0xbf955555, v1
	v_mul_f32_e32 v9, 0x3f4a47b2, v9
	v_mul_f32_e32 v13, 0x3d64c772, v11
	;; [unrolled: 1-line block ×4, first 2 shown]
	s_delay_alu instid0(VALU_DEP_4) | instskip(NEXT) | instid1(VALU_DEP_4)
	v_dual_fmamk_f32 v11, v11, 0x3d64c772, v8 :: v_dual_fmamk_f32 v12, v12, 0x3d64c772, v9
	v_fma_f32 v13, 0x3f3bfb3b, v18, -v13
	s_delay_alu instid0(VALU_DEP_4)
	v_fma_f32 v17, 0x3f3bfb3b, v19, -v17
	v_mul_f32_e32 v23, 0xbf5ff5aa, v4
	v_fma_f32 v8, 0xbf3bfb3b, v18, -v8
	v_fmamk_f32 v18, v16, 0xbeae86e6, v20
	v_add_f32_e32 v24, v12, v7
	v_fma_f32 v9, 0xbf3bfb3b, v19, -v9
	v_fmamk_f32 v19, v5, 0xbeae86e6, v21
	v_fma_f32 v21, 0xbf5ff5aa, v4, -v21
	v_fma_f32 v16, 0x3eae86e6, v16, -v22
	v_add_f32_e32 v12, v17, v7
	v_fma_f32 v22, 0x3eae86e6, v5, -v23
	v_add_f32_e32 v23, v11, v6
	v_fmac_f32_e32 v19, 0xbee1c552, v2
	v_add_f32_e32 v11, v13, v6
	v_fmac_f32_e32 v21, 0xbee1c552, v2
	v_fma_f32 v20, 0xbf5ff5aa, v3, -v20
	v_add_f32_e32 v13, v8, v6
	v_fmac_f32_e32 v16, 0xbee1c552, v10
	v_fmac_f32_e32 v18, 0xbee1c552, v10
	v_add_f32_e32 v8, v21, v11
	v_dual_add_f32 v17, v9, v7 :: v_dual_fmac_f32 v20, 0xbee1c552, v10
	s_delay_alu instid0(VALU_DEP_3) | instskip(NEXT) | instid1(VALU_DEP_2)
	v_sub_f32_e32 v3, v24, v18
	v_dual_sub_f32 v5, v17, v16 :: v_dual_fmac_f32 v22, 0xbee1c552, v2
	s_delay_alu instid0(VALU_DEP_3) | instskip(SKIP_2) | instid1(VALU_DEP_4)
	v_dual_add_f32 v7, v20, v12 :: v_dual_add_f32 v2, v19, v23
	v_dual_sub_f32 v9, v12, v20 :: v_dual_sub_f32 v12, v23, v19
	v_sub_f32_e32 v6, v11, v21
	v_add_f32_e32 v4, v22, v13
	v_dual_sub_f32 v10, v13, v22 :: v_dual_add_f32 v11, v16, v17
	v_add_f32_e32 v13, v18, v24
	ds_store_2addr_b64 v91, v[0:1], v[2:3] offset1:30
	ds_store_2addr_b64 v91, v[4:5], v[6:7] offset0:60 offset1:90
	ds_store_2addr_b64 v91, v[8:9], v[10:11] offset0:120 offset1:150
	ds_store_b64 v91, v[12:13] offset:1440
	global_wb scope:SCOPE_SE
	s_wait_dscnt 0x0
	s_barrier_signal -1
	s_barrier_wait -1
	global_inv scope:SCOPE_SE
	ds_load_2addr_b64 v[0:3], v79 offset1:210
	ds_load_2addr_b64 v[4:7], v14 offset0:36 offset1:246
	ds_load_2addr_b64 v[8:11], v15 offset0:8 offset1:218
	ds_load_b64 v[12:13], v79 offset:10080
	s_wait_dscnt 0x3
	v_mul_f32_e32 v16, v41, v3
	s_wait_dscnt 0x2
	v_mul_f32_e32 v18, v37, v7
	v_mul_f32_e32 v17, v41, v2
	s_wait_dscnt 0x1
	v_dual_mul_f32 v19, v37, v6 :: v_dual_mul_f32 v20, v39, v9
	v_fmac_f32_e32 v16, v40, v2
	v_fmac_f32_e32 v18, v36, v6
	s_wait_dscnt 0x0
	v_mul_f32_e32 v6, v35, v13
	v_fma_f32 v2, v40, v3, -v17
	v_dual_mul_f32 v3, v43, v5 :: v_dual_fmac_f32 v20, v38, v8
	v_mul_f32_e32 v8, v39, v8
	s_delay_alu instid0(VALU_DEP_4) | instskip(SKIP_1) | instid1(VALU_DEP_4)
	v_fmac_f32_e32 v6, v34, v12
	v_mul_f32_e32 v17, v43, v4
	v_fmac_f32_e32 v3, v42, v4
	s_delay_alu instid0(VALU_DEP_4) | instskip(NEXT) | instid1(VALU_DEP_3)
	v_fma_f32 v8, v38, v9, -v8
	v_fma_f32 v4, v42, v5, -v17
	v_fma_f32 v5, v36, v7, -v19
	v_mul_f32_e32 v19, v33, v10
	v_mul_f32_e32 v7, v35, v12
	s_delay_alu instid0(VALU_DEP_2) | instskip(SKIP_1) | instid1(VALU_DEP_3)
	v_fma_f32 v9, v32, v11, -v19
	v_mul_f32_e32 v17, v33, v11
	v_fma_f32 v7, v34, v13, -v7
	s_delay_alu instid0(VALU_DEP_3) | instskip(SKIP_1) | instid1(VALU_DEP_4)
	v_add_f32_e32 v12, v4, v9
	v_dual_sub_f32 v4, v4, v9 :: v_dual_add_f32 v9, v18, v20
	v_fmac_f32_e32 v17, v32, v10
	s_delay_alu instid0(VALU_DEP_4) | instskip(SKIP_4) | instid1(VALU_DEP_1)
	v_dual_add_f32 v10, v16, v6 :: v_dual_add_f32 v11, v2, v7
	v_sub_f32_e32 v6, v16, v6
	v_sub_f32_e32 v16, v20, v18
	v_dual_sub_f32 v2, v2, v7 :: v_dual_add_f32 v13, v5, v8
	v_add_f32_e32 v7, v3, v17
	v_dual_sub_f32 v5, v8, v5 :: v_dual_add_f32 v8, v7, v10
	v_sub_f32_e32 v18, v7, v10
	v_sub_f32_e32 v10, v10, v9
	v_sub_f32_e32 v3, v3, v17
	s_delay_alu instid0(VALU_DEP_4) | instskip(NEXT) | instid1(VALU_DEP_3)
	v_dual_sub_f32 v19, v12, v11 :: v_dual_add_f32 v8, v9, v8
	v_dual_add_f32 v21, v5, v4 :: v_dual_mul_f32 v10, 0x3f4a47b2, v10
	s_delay_alu instid0(VALU_DEP_3)
	v_sub_f32_e32 v22, v16, v3
	v_add_f32_e32 v17, v12, v11
	v_dual_sub_f32 v11, v11, v13 :: v_dual_add_f32 v20, v16, v3
	v_sub_f32_e32 v12, v13, v12
	v_sub_f32_e32 v7, v9, v7
	;; [unrolled: 1-line block ×3, first 2 shown]
	v_dual_sub_f32 v5, v2, v5 :: v_dual_add_f32 v0, v0, v8
	v_sub_f32_e32 v4, v4, v2
	v_add_f32_e32 v2, v21, v2
	v_dual_add_f32 v9, v13, v17 :: v_dual_sub_f32 v16, v6, v16
	s_delay_alu instid0(VALU_DEP_4) | instskip(SKIP_1) | instid1(VALU_DEP_3)
	v_dual_sub_f32 v3, v3, v6 :: v_dual_fmamk_f32 v8, v8, 0xbf955555, v0
	v_add_f32_e32 v6, v20, v6
	v_dual_mul_f32 v20, 0x3f08b237, v22 :: v_dual_add_f32 v1, v1, v9
	s_delay_alu instid0(VALU_DEP_3) | instskip(SKIP_1) | instid1(VALU_DEP_3)
	v_mul_f32_e32 v22, 0xbf5ff5aa, v3
	v_mul_f32_e32 v17, 0x3d64c772, v12
	v_fmamk_f32 v9, v9, 0xbf955555, v1
	v_mul_f32_e32 v11, 0x3f4a47b2, v11
	v_mul_f32_e32 v13, 0x3d64c772, v7
	v_fmamk_f32 v7, v7, 0x3d64c772, v10
	v_fma_f32 v10, 0xbf3bfb3b, v18, -v10
	v_fma_f32 v17, 0x3f3bfb3b, v19, -v17
	v_fmamk_f32 v12, v12, 0x3d64c772, v11
	v_fma_f32 v13, 0x3f3bfb3b, v18, -v13
	s_delay_alu instid0(VALU_DEP_4) | instskip(NEXT) | instid1(VALU_DEP_3)
	v_dual_mul_f32 v21, 0x3f08b237, v23 :: v_dual_add_f32 v10, v10, v8
	v_dual_mul_f32 v23, 0xbf5ff5aa, v4 :: v_dual_add_f32 v24, v12, v9
	v_fma_f32 v11, 0xbf3bfb3b, v19, -v11
	s_delay_alu instid0(VALU_DEP_4) | instskip(NEXT) | instid1(VALU_DEP_4)
	v_add_f32_e32 v12, v13, v8
	v_dual_fmamk_f32 v18, v16, 0xbeae86e6, v20 :: v_dual_fmamk_f32 v19, v5, 0xbeae86e6, v21
	v_fma_f32 v21, 0xbf5ff5aa, v4, -v21
	v_fma_f32 v20, 0xbf5ff5aa, v3, -v20
	;; [unrolled: 1-line block ×4, first 2 shown]
	v_dual_add_f32 v13, v17, v9 :: v_dual_fmac_f32 v18, 0xbee1c552, v6
	v_fmac_f32_e32 v21, 0xbee1c552, v2
	v_dual_add_f32 v11, v11, v9 :: v_dual_fmac_f32 v20, 0xbee1c552, v6
	v_fmac_f32_e32 v19, 0xbee1c552, v2
	v_fmac_f32_e32 v16, 0xbee1c552, v6
	s_delay_alu instid0(VALU_DEP_4) | instskip(SKIP_2) | instid1(VALU_DEP_3)
	v_dual_sub_f32 v6, v12, v21 :: v_dual_add_f32 v23, v7, v8
	v_fmac_f32_e32 v22, 0xbee1c552, v2
	v_dual_sub_f32 v3, v24, v18 :: v_dual_add_f32 v8, v21, v12
	v_dual_add_f32 v7, v20, v13 :: v_dual_add_f32 v2, v19, v23
	s_delay_alu instid0(VALU_DEP_3)
	v_dual_add_f32 v4, v22, v10 :: v_dual_sub_f32 v5, v11, v16
	v_dual_sub_f32 v10, v10, v22 :: v_dual_sub_f32 v9, v13, v20
	v_add_f32_e32 v11, v16, v11
	v_dual_sub_f32 v12, v23, v19 :: v_dual_add_f32 v13, v18, v24
	ds_store_2addr_b64 v79, v[0:1], v[2:3] offset1:210
	ds_store_2addr_b64 v14, v[4:5], v[6:7] offset0:36 offset1:246
	ds_store_2addr_b64 v15, v[8:9], v[10:11] offset0:8 offset1:218
	ds_store_b64 v79, v[12:13] offset:10080
	global_wb scope:SCOPE_SE
	s_wait_dscnt 0x0
	s_barrier_signal -1
	s_barrier_wait -1
	global_inv scope:SCOPE_SE
	ds_load_2addr_b64 v[0:3], v79 offset1:210
	v_add_nc_u32_e32 v4, 0x1600, v79
	ds_load_b64 v[10:11], v79 offset:9240
	v_mad_co_u64_u32 v[24:25], null, s6, v60, 0
	ds_load_2addr_b64 v[4:7], v4 offset0:31 offset1:241
	v_mad_co_u64_u32 v[28:29], null, s7, v60, v[25:26]
	s_wait_dscnt 0x2
	s_delay_alu instid0(VALU_DEP_1)
	v_dual_mov_b32 v25, v28 :: v_dual_mul_f32 v8, v74, v1
	v_mul_f32_e32 v9, v74, v0
	v_mul_f32_e32 v16, v66, v3
	s_wait_dscnt 0x1
	v_mul_f32_e32 v22, v72, v11
	v_dual_mul_f32 v23, v72, v10 :: v_dual_fmac_f32 v8, v73, v0
	s_wait_dscnt 0x0
	v_mul_f32_e32 v18, v68, v7
	v_fma_f32 v12, v73, v1, -v9
	ds_load_b64 v[0:1], v79 offset:3360
	v_mul_f32_e32 v15, v64, v4
	v_dual_mul_f32 v14, v64, v5 :: v_dual_mul_f32 v17, v66, v2
	v_fmac_f32_e32 v18, v67, v6
	v_mul_f32_e32 v6, v68, v6
	v_cvt_f64_f32_e32 v[8:9], v8
	v_cvt_f64_f32_e32 v[12:13], v12
	v_fmac_f32_e32 v16, v65, v2
	v_fmac_f32_e32 v14, v63, v4
	v_fma_f32 v4, v63, v5, -v15
	v_fma_f32 v17, v65, v3, -v17
	;; [unrolled: 1-line block ×3, first 2 shown]
	v_fmac_f32_e32 v22, v71, v10
	v_fma_f32 v23, v71, v11, -v23
	v_cvt_f64_f32_e32 v[2:3], v14
	v_cvt_f64_f32_e32 v[4:5], v4
	;; [unrolled: 1-line block ×3, first 2 shown]
	v_mad_co_u64_u32 v[27:28], null, s5, v80, v[27:28]
	s_wait_dscnt 0x0
	v_mul_f32_e32 v21, v70, v0
	v_mul_f32_e32 v20, v70, v1
	v_cvt_f64_f32_e32 v[14:15], v16
	v_cvt_f64_f32_e32 v[16:17], v17
	v_lshlrev_b64_e32 v[24:25], 3, v[24:25]
	v_fma_f32 v21, v69, v1, -v21
	v_fmac_f32_e32 v20, v69, v0
	v_cvt_f64_f32_e32 v[0:1], v6
	s_delay_alu instid0(VALU_DEP_3) | instskip(NEXT) | instid1(VALU_DEP_3)
	v_cvt_f64_f32_e32 v[10:11], v21
	v_cvt_f64_f32_e32 v[6:7], v20
	;; [unrolled: 1-line block ×4, first 2 shown]
	v_add_co_u32 v24, s0, s8, v24
	s_wait_alu 0xf1ff
	v_add_co_ci_u32_e64 v25, s0, s9, v25, s0
	s_movk_i32 s8, 0xfdf3
	s_mov_b32 s9, -1
	s_wait_alu 0xfffe
	v_mul_f64_e32 v[8:9], s[2:3], v[8:9]
	v_mul_f64_e32 v[12:13], s[2:3], v[12:13]
	;; [unrolled: 1-line block ×12, first 2 shown]
	v_cvt_f32_f64_e32 v8, v[8:9]
	v_cvt_f32_f64_e32 v9, v[12:13]
	v_lshlrev_b64_e32 v[12:13], 3, v[26:27]
	v_cvt_f32_f64_e32 v2, v[2:3]
	v_cvt_f32_f64_e32 v3, v[4:5]
	;; [unrolled: 1-line block ×6, first 2 shown]
	v_add_co_u32 v0, s0, v24, v12
	s_wait_alu 0xf1ff
	v_add_co_ci_u32_e64 v1, s0, v25, v13, s0
	v_cvt_f32_f64_e32 v6, v[6:7]
	v_cvt_f32_f64_e32 v7, v[10:11]
	;; [unrolled: 1-line block ×4, first 2 shown]
	s_mul_u64 s[0:1], s[4:5], 0x2df
	s_mul_u64 s[4:5], s[4:5], s[8:9]
	s_wait_alu 0xfffe
	s_lshl_b64 s[6:7], s[0:1], 3
	s_lshl_b64 s[4:5], s[4:5], 3
	s_wait_alu 0xfffe
	v_add_co_u32 v12, s0, v0, s6
	s_wait_alu 0xf1ff
	v_add_co_ci_u32_e64 v13, s0, s7, v1, s0
	s_delay_alu instid0(VALU_DEP_2) | instskip(SKIP_1) | instid1(VALU_DEP_2)
	v_add_co_u32 v16, s0, v12, s4
	s_wait_alu 0xf1ff
	v_add_co_ci_u32_e64 v17, s0, s5, v13, s0
	global_store_b64 v[0:1], v[8:9], off
	v_add_co_u32 v18, s0, v16, s6
	s_wait_alu 0xf1ff
	v_add_co_ci_u32_e64 v19, s0, s7, v17, s0
	s_delay_alu instid0(VALU_DEP_2) | instskip(SKIP_1) | instid1(VALU_DEP_2)
	v_add_co_u32 v20, s0, v18, s4
	s_wait_alu 0xf1ff
	v_add_co_ci_u32_e64 v21, s0, s5, v19, s0
	s_delay_alu instid0(VALU_DEP_2) | instskip(SKIP_1) | instid1(VALU_DEP_2)
	v_add_co_u32 v0, s0, v20, s6
	s_wait_alu 0xf1ff
	v_add_co_ci_u32_e64 v1, s0, s7, v21, s0
	s_clause 0x3
	global_store_b64 v[12:13], v[2:3], off
	global_store_b64 v[16:17], v[4:5], off
	;; [unrolled: 1-line block ×5, first 2 shown]
	s_and_b32 exec_lo, exec_lo, vcc_lo
	s_cbranch_execz .LBB0_31
; %bb.30:
	s_clause 0x1
	global_load_b64 v[2:3], v[61:62], off offset:5040
	global_load_b64 v[4:5], v[61:62], off offset:10920
	ds_load_b64 v[6:7], v79 offset:5040
	ds_load_b64 v[8:9], v79 offset:10920
	v_add_co_u32 v0, vcc_lo, v0, s4
	s_wait_alu 0xfffd
	v_add_co_ci_u32_e32 v1, vcc_lo, s5, v1, vcc_lo
	s_wait_loadcnt_dscnt 0x0
	v_dual_mul_f32 v10, v7, v3 :: v_dual_mul_f32 v11, v9, v5
	v_mul_f32_e32 v3, v6, v3
	s_delay_alu instid0(VALU_DEP_2) | instskip(NEXT) | instid1(VALU_DEP_3)
	v_dual_mul_f32 v5, v8, v5 :: v_dual_fmac_f32 v10, v6, v2
	v_fmac_f32_e32 v11, v8, v4
	s_delay_alu instid0(VALU_DEP_3) | instskip(NEXT) | instid1(VALU_DEP_3)
	v_fma_f32 v6, v2, v7, -v3
	v_fma_f32 v8, v4, v9, -v5
	s_delay_alu instid0(VALU_DEP_4) | instskip(NEXT) | instid1(VALU_DEP_3)
	v_cvt_f64_f32_e32 v[2:3], v10
	v_cvt_f64_f32_e32 v[4:5], v6
	;; [unrolled: 1-line block ×3, first 2 shown]
	s_delay_alu instid0(VALU_DEP_4) | instskip(NEXT) | instid1(VALU_DEP_4)
	v_cvt_f64_f32_e32 v[8:9], v8
	v_mul_f64_e32 v[2:3], s[2:3], v[2:3]
	s_delay_alu instid0(VALU_DEP_4) | instskip(NEXT) | instid1(VALU_DEP_4)
	v_mul_f64_e32 v[4:5], s[2:3], v[4:5]
	v_mul_f64_e32 v[6:7], s[2:3], v[6:7]
	s_delay_alu instid0(VALU_DEP_4) | instskip(NEXT) | instid1(VALU_DEP_4)
	v_mul_f64_e32 v[8:9], s[2:3], v[8:9]
	v_cvt_f32_f64_e32 v2, v[2:3]
	s_delay_alu instid0(VALU_DEP_4) | instskip(NEXT) | instid1(VALU_DEP_4)
	v_cvt_f32_f64_e32 v3, v[4:5]
	v_cvt_f32_f64_e32 v4, v[6:7]
	s_delay_alu instid0(VALU_DEP_4)
	v_cvt_f32_f64_e32 v5, v[8:9]
	v_add_co_u32 v6, vcc_lo, v0, s6
	s_wait_alu 0xfffd
	v_add_co_ci_u32_e32 v7, vcc_lo, s7, v1, vcc_lo
	global_store_b64 v[0:1], v[2:3], off
	global_store_b64 v[6:7], v[4:5], off
.LBB0_31:
	s_nop 0
	s_sendmsg sendmsg(MSG_DEALLOC_VGPRS)
	s_endpgm
	.section	.rodata,"a",@progbits
	.p2align	6, 0x0
	.amdhsa_kernel bluestein_single_fwd_len1470_dim1_sp_op_CI_CI
		.amdhsa_group_segment_fixed_size 11760
		.amdhsa_private_segment_fixed_size 0
		.amdhsa_kernarg_size 104
		.amdhsa_user_sgpr_count 2
		.amdhsa_user_sgpr_dispatch_ptr 0
		.amdhsa_user_sgpr_queue_ptr 0
		.amdhsa_user_sgpr_kernarg_segment_ptr 1
		.amdhsa_user_sgpr_dispatch_id 0
		.amdhsa_user_sgpr_private_segment_size 0
		.amdhsa_wavefront_size32 1
		.amdhsa_uses_dynamic_stack 0
		.amdhsa_enable_private_segment 0
		.amdhsa_system_sgpr_workgroup_id_x 1
		.amdhsa_system_sgpr_workgroup_id_y 0
		.amdhsa_system_sgpr_workgroup_id_z 0
		.amdhsa_system_sgpr_workgroup_info 0
		.amdhsa_system_vgpr_workitem_id 0
		.amdhsa_next_free_vgpr 106
		.amdhsa_next_free_sgpr 18
		.amdhsa_reserve_vcc 1
		.amdhsa_float_round_mode_32 0
		.amdhsa_float_round_mode_16_64 0
		.amdhsa_float_denorm_mode_32 3
		.amdhsa_float_denorm_mode_16_64 3
		.amdhsa_fp16_overflow 0
		.amdhsa_workgroup_processor_mode 1
		.amdhsa_memory_ordered 1
		.amdhsa_forward_progress 0
		.amdhsa_round_robin_scheduling 0
		.amdhsa_exception_fp_ieee_invalid_op 0
		.amdhsa_exception_fp_denorm_src 0
		.amdhsa_exception_fp_ieee_div_zero 0
		.amdhsa_exception_fp_ieee_overflow 0
		.amdhsa_exception_fp_ieee_underflow 0
		.amdhsa_exception_fp_ieee_inexact 0
		.amdhsa_exception_int_div_zero 0
	.end_amdhsa_kernel
	.text
.Lfunc_end0:
	.size	bluestein_single_fwd_len1470_dim1_sp_op_CI_CI, .Lfunc_end0-bluestein_single_fwd_len1470_dim1_sp_op_CI_CI
                                        ; -- End function
	.section	.AMDGPU.csdata,"",@progbits
; Kernel info:
; codeLenInByte = 9988
; NumSgprs: 20
; NumVgprs: 106
; ScratchSize: 0
; MemoryBound: 0
; FloatMode: 240
; IeeeMode: 1
; LDSByteSize: 11760 bytes/workgroup (compile time only)
; SGPRBlocks: 2
; VGPRBlocks: 13
; NumSGPRsForWavesPerEU: 20
; NumVGPRsForWavesPerEU: 106
; Occupancy: 12
; WaveLimiterHint : 1
; COMPUTE_PGM_RSRC2:SCRATCH_EN: 0
; COMPUTE_PGM_RSRC2:USER_SGPR: 2
; COMPUTE_PGM_RSRC2:TRAP_HANDLER: 0
; COMPUTE_PGM_RSRC2:TGID_X_EN: 1
; COMPUTE_PGM_RSRC2:TGID_Y_EN: 0
; COMPUTE_PGM_RSRC2:TGID_Z_EN: 0
; COMPUTE_PGM_RSRC2:TIDIG_COMP_CNT: 0
	.text
	.p2alignl 7, 3214868480
	.fill 96, 4, 3214868480
	.type	__hip_cuid_6d939934704b2eeb,@object ; @__hip_cuid_6d939934704b2eeb
	.section	.bss,"aw",@nobits
	.globl	__hip_cuid_6d939934704b2eeb
__hip_cuid_6d939934704b2eeb:
	.byte	0                               ; 0x0
	.size	__hip_cuid_6d939934704b2eeb, 1

	.ident	"AMD clang version 19.0.0git (https://github.com/RadeonOpenCompute/llvm-project roc-6.4.0 25133 c7fe45cf4b819c5991fe208aaa96edf142730f1d)"
	.section	".note.GNU-stack","",@progbits
	.addrsig
	.addrsig_sym __hip_cuid_6d939934704b2eeb
	.amdgpu_metadata
---
amdhsa.kernels:
  - .args:
      - .actual_access:  read_only
        .address_space:  global
        .offset:         0
        .size:           8
        .value_kind:     global_buffer
      - .actual_access:  read_only
        .address_space:  global
        .offset:         8
        .size:           8
        .value_kind:     global_buffer
      - .actual_access:  read_only
        .address_space:  global
        .offset:         16
        .size:           8
        .value_kind:     global_buffer
      - .actual_access:  read_only
        .address_space:  global
        .offset:         24
        .size:           8
        .value_kind:     global_buffer
      - .actual_access:  read_only
        .address_space:  global
        .offset:         32
        .size:           8
        .value_kind:     global_buffer
      - .offset:         40
        .size:           8
        .value_kind:     by_value
      - .address_space:  global
        .offset:         48
        .size:           8
        .value_kind:     global_buffer
      - .address_space:  global
        .offset:         56
        .size:           8
        .value_kind:     global_buffer
      - .address_space:  global
        .offset:         64
        .size:           8
        .value_kind:     global_buffer
      - .address_space:  global
        .offset:         72
        .size:           8
        .value_kind:     global_buffer
      - .offset:         80
        .size:           4
        .value_kind:     by_value
      - .address_space:  global
        .offset:         88
        .size:           8
        .value_kind:     global_buffer
      - .address_space:  global
        .offset:         96
        .size:           8
        .value_kind:     global_buffer
    .group_segment_fixed_size: 11760
    .kernarg_segment_align: 8
    .kernarg_segment_size: 104
    .language:       OpenCL C
    .language_version:
      - 2
      - 0
    .max_flat_workgroup_size: 210
    .name:           bluestein_single_fwd_len1470_dim1_sp_op_CI_CI
    .private_segment_fixed_size: 0
    .sgpr_count:     20
    .sgpr_spill_count: 0
    .symbol:         bluestein_single_fwd_len1470_dim1_sp_op_CI_CI.kd
    .uniform_work_group_size: 1
    .uses_dynamic_stack: false
    .vgpr_count:     106
    .vgpr_spill_count: 0
    .wavefront_size: 32
    .workgroup_processor_mode: 1
amdhsa.target:   amdgcn-amd-amdhsa--gfx1201
amdhsa.version:
  - 1
  - 2
...

	.end_amdgpu_metadata
